;; amdgpu-corpus repo=ROCm/rocFFT kind=compiled arch=gfx90a opt=O3
	.text
	.amdgcn_target "amdgcn-amd-amdhsa--gfx90a"
	.amdhsa_code_object_version 6
	.protected	bluestein_single_fwd_len1694_dim1_dp_op_CI_CI ; -- Begin function bluestein_single_fwd_len1694_dim1_dp_op_CI_CI
	.globl	bluestein_single_fwd_len1694_dim1_dp_op_CI_CI
	.p2align	8
	.type	bluestein_single_fwd_len1694_dim1_dp_op_CI_CI,@function
bluestein_single_fwd_len1694_dim1_dp_op_CI_CI: ; @bluestein_single_fwd_len1694_dim1_dp_op_CI_CI
; %bb.0:
	s_load_dwordx4 s[16:19], s[4:5], 0x28
	v_mul_u32_u24_e32 v1, 0x1aa, v0
	v_add_u32_sdwa v6, s6, v1 dst_sel:DWORD dst_unused:UNUSED_PAD src0_sel:DWORD src1_sel:WORD_1
	v_mov_b32_e32 v7, 0
	s_waitcnt lgkmcnt(0)
	v_cmp_gt_u64_e32 vcc, s[16:17], v[6:7]
	s_and_saveexec_b64 s[0:1], vcc
	s_cbranch_execz .LBB0_18
; %bb.1:
	s_load_dwordx4 s[0:3], s[4:5], 0x18
	s_load_dwordx4 s[12:15], s[4:5], 0x0
	v_accvgpr_write_b32 a0, v6
	s_mov_b32 s26, 0xf8bb580b
	s_mov_b32 s24, 0xbb3a28a1
	s_waitcnt lgkmcnt(0)
	s_load_dwordx4 s[8:11], s[0:1], 0x0
	s_movk_i32 s0, 0x9a
	v_mul_lo_u16_sdwa v1, v1, s0 dst_sel:DWORD dst_unused:UNUSED_PAD src0_sel:WORD_1 src1_sel:DWORD
	v_sub_u16_e32 v212, v0, v1
	v_lshlrev_b32_e32 v213, 4, v212
	s_waitcnt lgkmcnt(0)
	v_mad_u64_u32 v[0:1], s[0:1], s10, v6, 0
	v_mov_b32_e32 v4, v1
	v_mad_u64_u32 v[2:3], s[0:1], s8, v212, 0
	v_mad_u64_u32 v[4:5], s[0:1], s11, v6, v[4:5]
	v_mov_b32_e32 v1, v4
	v_mov_b32_e32 v4, v3
	v_mad_u64_u32 v[4:5], s[0:1], s9, v212, v[4:5]
	v_lshlrev_b64 v[0:1], 4, v[0:1]
	v_mov_b32_e32 v3, v4
	v_mov_b32_e32 v4, s19
	v_add_co_u32_e32 v5, vcc, s18, v0
	v_addc_co_u32_e32 v4, vcc, v4, v1, vcc
	v_lshlrev_b64 v[0:1], 4, v[2:3]
	v_add_co_u32_e32 v0, vcc, v5, v0
	v_addc_co_u32_e32 v1, vcc, v4, v1, vcc
	v_mov_b32_e32 v3, 0x9a0
	v_mad_u64_u32 v[4:5], s[0:1], s8, v3, v[0:1]
	s_mul_i32 s0, s9, 0x9a0
	v_add_u32_e32 v5, s0, v5
	global_load_dwordx4 v[44:47], v[0:1], off
	v_mov_b32_e32 v2, s13
	v_add_co_u32_e64 v215, s[6:7], s12, v213
	v_mad_u64_u32 v[6:7], s[10:11], s8, v3, v[4:5]
	v_addc_co_u32_e64 v2, vcc, 0, v2, s[6:7]
	global_load_dwordx4 v[8:11], v213, s[12:13]
	global_load_dwordx4 v[92:95], v213, s[12:13] offset:2464
	v_add_u32_e32 v7, s0, v7
	s_movk_i32 s1, 0x1000
	v_add_co_u32_e32 v16, vcc, s1, v215
	v_mad_u64_u32 v[18:19], s[10:11], s8, v3, v[6:7]
	global_load_dwordx4 v[52:55], v[4:5], off
	global_load_dwordx4 v[48:51], v[6:7], off
	v_addc_co_u32_e32 v17, vcc, 0, v2, vcc
	v_add_u32_e32 v19, s0, v19
	global_load_dwordx4 v[12:15], v[16:17], off offset:832
	global_load_dwordx4 v[4:7], v[16:17], off offset:3296
	v_mad_u64_u32 v[16:17], s[10:11], s8, v3, v[18:19]
	s_movk_i32 s1, 0x2000
	v_add_u32_e32 v17, s0, v17
	v_add_co_u32_e32 v20, vcc, s1, v215
	v_addc_co_u32_e32 v21, vcc, 0, v2, vcc
	v_mad_u64_u32 v[22:23], s[10:11], s8, v3, v[16:17]
	s_movk_i32 s1, 0x3000
	global_load_dwordx4 v[56:59], v[18:19], off
	global_load_dwordx4 v[60:63], v[16:17], off
	v_add_u32_e32 v23, s0, v23
	v_add_co_u32_e32 v24, vcc, s1, v215
	global_load_dwordx4 v[64:67], v[22:23], off
	v_addc_co_u32_e32 v25, vcc, 0, v2, vcc
	global_load_dwordx4 v[28:31], v[20:21], off offset:1664
	global_load_dwordx4 v[16:19], v[24:25], off offset:32
	v_mad_u64_u32 v[20:21], s[10:11], s8, v3, v[22:23]
	v_add_u32_e32 v21, s0, v21
	v_mad_u64_u32 v[26:27], s[10:11], s8, v3, v[20:21]
	s_movk_i32 s1, 0x4000
	v_add_u32_e32 v27, s0, v27
	v_add_co_u32_e32 v32, vcc, s1, v215
	global_load_dwordx4 v[68:71], v[20:21], off
	global_load_dwordx4 v[72:75], v[26:27], off
	v_addc_co_u32_e32 v33, vcc, 0, v2, vcc
	global_load_dwordx4 v[36:39], v[24:25], off offset:2496
	global_load_dwordx4 v[20:23], v[32:33], off offset:864
	v_mad_u64_u32 v[24:25], s[10:11], s8, v3, v[26:27]
	v_add_u32_e32 v25, s0, v25
	v_mad_u64_u32 v[34:35], s[10:11], s8, v3, v[24:25]
	s_movk_i32 s1, 0x5000
	v_add_u32_e32 v35, s0, v35
	v_add_co_u32_e32 v84, vcc, s1, v215
	global_load_dwordx4 v[76:79], v[24:25], off
	global_load_dwordx4 v[80:83], v[34:35], off
	v_addc_co_u32_e32 v85, vcc, 0, v2, vcc
	global_load_dwordx4 v[40:43], v[32:33], off offset:3328
	global_load_dwordx4 v[24:27], v[84:85], off offset:1696
	v_mad_u64_u32 v[32:33], s[8:9], s8, v3, v[34:35]
	v_add_u32_e32 v33, s0, v33
	s_movk_i32 s0, 0x6000
	global_load_dwordx4 v[84:87], v[32:33], off
	v_add_co_u32_e32 v32, vcc, s0, v215
	v_addc_co_u32_e32 v33, vcc, 0, v2, vcc
	global_load_dwordx4 v[32:35], v[32:33], off offset:64
	s_load_dwordx2 s[16:17], s[4:5], 0x38
	s_load_dwordx4 s[8:11], s[2:3], 0x0
	s_mov_b32 s18, 0x43842ef
	s_mov_b32 s30, 0xfd768dbf
	s_mov_b32 s27, 0xbfe14ced
	s_mov_b32 s20, 0x8764f0ba
	s_mov_b32 s5, 0xbfed1bb4
	s_mov_b32 s4, 0x8eee2c13
	s_mov_b32 s0, 0xd9c712b6
	s_mov_b32 s19, 0xbfefac9e
	s_mov_b32 s2, 0x640f44db
	s_waitcnt vmcnt(20)
	v_mul_f64 v[88:89], v[46:47], v[10:11]
	v_fmac_f64_e32 v[88:89], v[44:45], v[8:9]
	v_mul_f64 v[44:45], v[44:45], v[10:11]
	v_fma_f64 v[90:91], v[46:47], v[8:9], -v[44:45]
	ds_write_b128 v213, v[88:91]
	s_waitcnt vmcnt(19)
	v_accvgpr_write_b32 a2, v92
	v_accvgpr_write_b32 a3, v93
	s_waitcnt vmcnt(18)
	v_mul_f64 v[44:45], v[54:55], v[94:95]
	v_mul_f64 v[46:47], v[52:53], v[94:95]
	v_fmac_f64_e32 v[44:45], v[52:53], v[92:93]
	v_fma_f64 v[46:47], v[54:55], v[92:93], -v[46:47]
	ds_write_b128 v213, v[44:47] offset:2464
	s_waitcnt vmcnt(16)
	v_mul_f64 v[44:45], v[50:51], v[14:15]
	v_mul_f64 v[46:47], v[48:49], v[14:15]
	v_fmac_f64_e32 v[44:45], v[48:49], v[12:13]
	v_fma_f64 v[46:47], v[50:51], v[12:13], -v[46:47]
	ds_write_b128 v213, v[44:47] offset:4928
	v_accvgpr_write_b32 a4, v94
	v_accvgpr_write_b32 a5, v95
	s_mov_b32 s25, 0xbfe82f19
	s_mov_b32 s22, 0x7f775887
	;; [unrolled: 1-line block ×4, first 2 shown]
	s_waitcnt vmcnt(14)
	v_mul_f64 v[44:45], v[58:59], v[6:7]
	v_mul_f64 v[46:47], v[56:57], v[6:7]
	v_fmac_f64_e32 v[44:45], v[56:57], v[4:5]
	v_fma_f64 v[46:47], v[58:59], v[4:5], -v[46:47]
	ds_write_b128 v213, v[44:47] offset:7392
	s_mov_b32 s21, 0x3feaeb8c
	s_mov_b32 s1, 0x3fda9628
	s_waitcnt vmcnt(11)
	v_mul_f64 v[44:45], v[62:63], v[30:31]
	v_mul_f64 v[46:47], v[60:61], v[30:31]
	v_fmac_f64_e32 v[44:45], v[60:61], v[28:29]
	v_fma_f64 v[46:47], v[62:63], v[28:29], -v[46:47]
	ds_write_b128 v213, v[44:47] offset:9856
	s_waitcnt vmcnt(10)
	v_mul_f64 v[44:45], v[66:67], v[18:19]
	v_mul_f64 v[46:47], v[64:65], v[18:19]
	v_fmac_f64_e32 v[44:45], v[64:65], v[16:17]
	v_fma_f64 v[46:47], v[66:67], v[16:17], -v[46:47]
	ds_write_b128 v213, v[44:47] offset:12320
	s_mov_b32 s3, 0xbfc2375f
	s_mov_b32 s23, 0xbfe4f49e
	;; [unrolled: 1-line block ×4, first 2 shown]
	s_waitcnt vmcnt(7)
	v_mul_f64 v[44:45], v[70:71], v[38:39]
	v_mul_f64 v[46:47], v[68:69], v[38:39]
	v_fmac_f64_e32 v[44:45], v[68:69], v[36:37]
	v_fma_f64 v[46:47], v[70:71], v[36:37], -v[46:47]
	ds_write_b128 v213, v[44:47] offset:14784
	s_waitcnt vmcnt(6)
	v_mul_f64 v[44:45], v[74:75], v[22:23]
	v_mul_f64 v[46:47], v[72:73], v[22:23]
	v_fmac_f64_e32 v[44:45], v[72:73], v[20:21]
	v_fma_f64 v[46:47], v[74:75], v[20:21], -v[46:47]
	ds_write_b128 v213, v[44:47] offset:17248
	s_mov_b32 s38, s30
	s_mov_b32 s37, 0x3fefac9e
	;; [unrolled: 1-line block ×4, first 2 shown]
	s_waitcnt vmcnt(3)
	v_mul_f64 v[44:45], v[78:79], v[42:43]
	v_mul_f64 v[46:47], v[76:77], v[42:43]
	v_fmac_f64_e32 v[44:45], v[76:77], v[40:41]
	v_fma_f64 v[46:47], v[78:79], v[40:41], -v[46:47]
	ds_write_b128 v213, v[44:47] offset:19712
	s_waitcnt vmcnt(2)
	v_mul_f64 v[44:45], v[82:83], v[26:27]
	v_mul_f64 v[46:47], v[80:81], v[26:27]
	v_fmac_f64_e32 v[44:45], v[80:81], v[24:25]
	v_fma_f64 v[46:47], v[82:83], v[24:25], -v[46:47]
	ds_write_b128 v213, v[44:47] offset:22176
	s_mov_b32 s34, s26
	s_waitcnt vmcnt(0)
	v_mul_f64 v[44:45], v[86:87], v[34:35]
	v_mul_f64 v[46:47], v[84:85], v[34:35]
	v_fmac_f64_e32 v[44:45], v[84:85], v[32:33]
	v_fma_f64 v[46:47], v[86:87], v[32:33], -v[46:47]
	ds_write_b128 v213, v[44:47] offset:24640
	s_waitcnt lgkmcnt(0)
	s_barrier
	ds_read_b128 v[68:71], v213
	ds_read_b128 v[72:75], v213 offset:2464
	ds_read_b128 v[76:79], v213 offset:4928
	;; [unrolled: 1-line block ×10, first 2 shown]
	s_waitcnt lgkmcnt(9)
	v_add_f64 v[44:45], v[68:69], v[72:73]
	v_add_f64 v[46:47], v[70:71], v[74:75]
	s_waitcnt lgkmcnt(8)
	v_add_f64 v[44:45], v[44:45], v[76:77]
	v_add_f64 v[46:47], v[46:47], v[78:79]
	;; [unrolled: 3-line block ×8, first 2 shown]
	s_waitcnt lgkmcnt(1)
	v_add_f64 v[44:45], v[44:45], v[84:85]
	s_waitcnt lgkmcnt(0)
	v_add_f64 v[94:95], v[74:75], v[90:91]
	v_add_f64 v[74:75], v[74:75], -v[90:91]
	v_add_f64 v[46:47], v[46:47], v[86:87]
	v_add_f64 v[44:45], v[44:45], v[88:89]
	;; [unrolled: 1-line block ×3, first 2 shown]
	v_add_f64 v[72:73], v[72:73], -v[88:89]
	v_mul_f64 v[88:89], v[74:75], s[26:27]
	v_mul_f64 v[100:101], v[74:75], s[4:5]
	;; [unrolled: 1-line block ×5, first 2 shown]
	v_add_f64 v[46:47], v[46:47], v[90:91]
	v_fma_f64 v[90:91], v[92:93], s[20:21], -v[88:89]
	v_mul_f64 v[96:97], v[72:73], s[26:27]
	v_fmac_f64_e32 v[88:89], s[20:21], v[92:93]
	v_fma_f64 v[102:103], v[92:93], s[0:1], -v[100:101]
	v_mul_f64 v[104:105], v[72:73], s[4:5]
	v_fmac_f64_e32 v[100:101], s[0:1], v[92:93]
	;; [unrolled: 3-line block ×5, first 2 shown]
	v_add_f64 v[90:91], v[68:69], v[90:91]
	v_fma_f64 v[98:99], s[20:21], v[94:95], v[96:97]
	v_add_f64 v[88:89], v[68:69], v[88:89]
	v_fma_f64 v[96:97], v[94:95], s[20:21], -v[96:97]
	v_add_f64 v[102:103], v[68:69], v[102:103]
	v_fma_f64 v[106:107], s[0:1], v[94:95], v[104:105]
	v_add_f64 v[100:101], v[68:69], v[100:101]
	v_fma_f64 v[104:105], v[94:95], s[0:1], -v[104:105]
	v_add_f64 v[110:111], v[68:69], v[110:111]
	v_fma_f64 v[114:115], s[2:3], v[94:95], v[112:113]
	v_add_f64 v[108:109], v[68:69], v[108:109]
	v_fma_f64 v[112:113], v[94:95], s[2:3], -v[112:113]
	v_add_f64 v[118:119], v[68:69], v[118:119]
	v_fma_f64 v[122:123], s[22:23], v[94:95], v[120:121]
	v_add_f64 v[116:117], v[68:69], v[116:117]
	v_fma_f64 v[120:121], v[94:95], s[22:23], -v[120:121]
	v_add_f64 v[124:125], v[68:69], v[124:125]
	v_fma_f64 v[126:127], s[28:29], v[94:95], v[72:73]
	v_add_f64 v[68:69], v[68:69], v[74:75]
	v_fma_f64 v[72:73], v[94:95], s[28:29], -v[72:73]
	v_add_f64 v[74:75], v[78:79], v[86:87]
	v_add_f64 v[78:79], v[78:79], -v[86:87]
	v_add_f64 v[98:99], v[70:71], v[98:99]
	v_add_f64 v[96:97], v[70:71], v[96:97]
	;; [unrolled: 1-line block ×11, first 2 shown]
	v_add_f64 v[76:77], v[76:77], -v[84:85]
	v_mul_f64 v[84:85], v[78:79], s[4:5]
	v_fma_f64 v[86:87], v[72:73], s[0:1], -v[84:85]
	v_add_f64 v[86:87], v[86:87], v[90:91]
	v_mul_f64 v[90:91], v[76:77], s[4:5]
	v_fmac_f64_e32 v[84:85], s[0:1], v[72:73]
	v_fma_f64 v[92:93], s[0:1], v[74:75], v[90:91]
	v_add_f64 v[84:85], v[84:85], v[88:89]
	v_fma_f64 v[88:89], v[74:75], s[0:1], -v[90:91]
	v_mul_f64 v[90:91], v[78:79], s[24:25]
	v_add_f64 v[88:89], v[88:89], v[96:97]
	v_fma_f64 v[94:95], v[72:73], s[22:23], -v[90:91]
	v_mul_f64 v[96:97], v[76:77], s[24:25]
	v_fmac_f64_e32 v[90:91], s[22:23], v[72:73]
	v_add_f64 v[92:93], v[92:93], v[98:99]
	v_fma_f64 v[98:99], s[22:23], v[74:75], v[96:97]
	v_add_f64 v[90:91], v[90:91], v[100:101]
	v_fma_f64 v[96:97], v[74:75], s[22:23], -v[96:97]
	v_mul_f64 v[100:101], v[78:79], s[38:39]
	v_add_f64 v[94:95], v[94:95], v[102:103]
	v_add_f64 v[96:97], v[96:97], v[104:105]
	v_fma_f64 v[102:103], v[72:73], s[28:29], -v[100:101]
	v_mul_f64 v[104:105], v[76:77], s[38:39]
	v_fmac_f64_e32 v[100:101], s[28:29], v[72:73]
	v_add_f64 v[98:99], v[98:99], v[106:107]
	v_fma_f64 v[106:107], s[28:29], v[74:75], v[104:105]
	v_add_f64 v[100:101], v[100:101], v[108:109]
	v_fma_f64 v[104:105], v[74:75], s[28:29], -v[104:105]
	v_mul_f64 v[108:109], v[78:79], s[36:37]
	v_add_f64 v[102:103], v[102:103], v[110:111]
	v_add_f64 v[104:105], v[104:105], v[112:113]
	v_fma_f64 v[110:111], v[72:73], s[2:3], -v[108:109]
	v_mul_f64 v[112:113], v[76:77], s[36:37]
	v_fmac_f64_e32 v[108:109], s[2:3], v[72:73]
	v_mul_f64 v[78:79], v[78:79], s[34:35]
	v_mul_f64 v[76:77], v[76:77], s[34:35]
	v_add_f64 v[106:107], v[106:107], v[114:115]
	v_add_f64 v[110:111], v[110:111], v[118:119]
	v_fma_f64 v[114:115], s[2:3], v[74:75], v[112:113]
	v_add_f64 v[108:109], v[108:109], v[116:117]
	v_fma_f64 v[112:113], v[74:75], s[2:3], -v[112:113]
	v_fma_f64 v[116:117], v[72:73], s[20:21], -v[78:79]
	v_fma_f64 v[118:119], s[20:21], v[74:75], v[76:77]
	v_fmac_f64_e32 v[78:79], s[20:21], v[72:73]
	v_fma_f64 v[72:73], v[74:75], s[20:21], -v[76:77]
	v_add_f64 v[74:75], v[66:67], v[82:83]
	v_add_f64 v[66:67], v[66:67], -v[82:83]
	v_add_f64 v[70:71], v[72:73], v[70:71]
	v_add_f64 v[72:73], v[64:65], v[80:81]
	v_add_f64 v[64:65], v[64:65], -v[80:81]
	v_mul_f64 v[76:77], v[66:67], s[18:19]
	v_add_f64 v[68:69], v[78:79], v[68:69]
	v_fma_f64 v[78:79], v[72:73], s[2:3], -v[76:77]
	v_mul_f64 v[80:81], v[64:65], s[18:19]
	v_fmac_f64_e32 v[76:77], s[2:3], v[72:73]
	v_fma_f64 v[82:83], s[2:3], v[74:75], v[80:81]
	v_add_f64 v[76:77], v[76:77], v[84:85]
	v_fma_f64 v[80:81], v[74:75], s[2:3], -v[80:81]
	v_mul_f64 v[84:85], v[66:67], s[38:39]
	v_add_f64 v[78:79], v[78:79], v[86:87]
	v_add_f64 v[80:81], v[80:81], v[88:89]
	v_fma_f64 v[86:87], v[72:73], s[28:29], -v[84:85]
	v_mul_f64 v[88:89], v[64:65], s[38:39]
	v_fmac_f64_e32 v[84:85], s[28:29], v[72:73]
	s_mov_b32 s5, 0x3fed1bb4
	v_add_f64 v[82:83], v[82:83], v[92:93]
	v_fma_f64 v[92:93], s[28:29], v[74:75], v[88:89]
	v_add_f64 v[84:85], v[84:85], v[90:91]
	v_fma_f64 v[88:89], v[74:75], s[28:29], -v[88:89]
	v_mul_f64 v[90:91], v[66:67], s[4:5]
	v_add_f64 v[86:87], v[86:87], v[94:95]
	v_add_f64 v[88:89], v[88:89], v[96:97]
	v_fma_f64 v[94:95], v[72:73], s[0:1], -v[90:91]
	v_mul_f64 v[96:97], v[64:65], s[4:5]
	v_fmac_f64_e32 v[90:91], s[0:1], v[72:73]
	v_add_f64 v[92:93], v[92:93], v[98:99]
	v_fma_f64 v[98:99], s[0:1], v[74:75], v[96:97]
	v_add_f64 v[90:91], v[90:91], v[100:101]
	v_fma_f64 v[96:97], v[74:75], s[0:1], -v[96:97]
	v_mul_f64 v[100:101], v[66:67], s[26:27]
	v_add_f64 v[94:95], v[94:95], v[102:103]
	v_add_f64 v[96:97], v[96:97], v[104:105]
	v_fma_f64 v[102:103], v[72:73], s[20:21], -v[100:101]
	v_mul_f64 v[104:105], v[64:65], s[26:27]
	v_mul_f64 v[64:65], v[64:65], s[24:25]
	v_add_f64 v[102:103], v[102:103], v[110:111]
	v_fmac_f64_e32 v[100:101], s[20:21], v[72:73]
	v_mul_f64 v[66:67], v[66:67], s[24:25]
	v_fma_f64 v[110:111], s[22:23], v[74:75], v[64:65]
	v_fma_f64 v[64:65], v[74:75], s[22:23], -v[64:65]
	v_add_f64 v[100:101], v[100:101], v[108:109]
	v_fma_f64 v[108:109], v[72:73], s[22:23], -v[66:67]
	v_fmac_f64_e32 v[66:67], s[22:23], v[72:73]
	v_add_f64 v[64:65], v[64:65], v[70:71]
	v_add_f64 v[70:71], v[58:59], v[62:63]
	v_add_f64 v[58:59], v[58:59], -v[62:63]
	v_add_f64 v[66:67], v[66:67], v[68:69]
	v_add_f64 v[68:69], v[56:57], v[60:61]
	v_add_f64 v[56:57], v[56:57], -v[60:61]
	v_mul_f64 v[60:61], v[58:59], s[24:25]
	v_fma_f64 v[62:63], v[68:69], s[22:23], -v[60:61]
	v_fmac_f64_e32 v[60:61], s[22:23], v[68:69]
	v_mul_f64 v[72:73], v[56:57], s[24:25]
	v_add_f64 v[60:61], v[60:61], v[76:77]
	v_mul_f64 v[76:77], v[58:59], s[36:37]
	v_add_f64 v[98:99], v[98:99], v[106:107]
	v_fma_f64 v[106:107], s[20:21], v[74:75], v[104:105]
	v_fma_f64 v[104:105], v[74:75], s[20:21], -v[104:105]
	v_add_f64 v[62:63], v[62:63], v[78:79]
	v_fma_f64 v[74:75], s[22:23], v[70:71], v[72:73]
	v_fma_f64 v[72:73], v[70:71], s[22:23], -v[72:73]
	v_fma_f64 v[78:79], v[68:69], s[2:3], -v[76:77]
	v_fmac_f64_e32 v[76:77], s[2:3], v[68:69]
	v_add_f64 v[72:73], v[72:73], v[80:81]
	v_mul_f64 v[80:81], v[56:57], s[36:37]
	v_add_f64 v[76:77], v[76:77], v[84:85]
	v_mul_f64 v[84:85], v[58:59], s[26:27]
	v_add_f64 v[74:75], v[74:75], v[82:83]
	v_add_f64 v[78:79], v[78:79], v[86:87]
	v_fma_f64 v[82:83], s[2:3], v[70:71], v[80:81]
	v_fma_f64 v[80:81], v[70:71], s[2:3], -v[80:81]
	v_fma_f64 v[86:87], v[68:69], s[20:21], -v[84:85]
	v_fmac_f64_e32 v[84:85], s[20:21], v[68:69]
	v_add_f64 v[80:81], v[80:81], v[88:89]
	v_mul_f64 v[88:89], v[56:57], s[26:27]
	v_add_f64 v[84:85], v[84:85], v[90:91]
	v_mul_f64 v[90:91], v[58:59], s[30:31]
	v_add_f64 v[114:115], v[114:115], v[122:123]
	v_add_f64 v[116:117], v[116:117], v[124:125]
	v_add_f64 v[82:83], v[82:83], v[92:93]
	v_add_f64 v[86:87], v[86:87], v[94:95]
	v_fma_f64 v[92:93], s[20:21], v[70:71], v[88:89]
	v_fma_f64 v[88:89], v[70:71], s[20:21], -v[88:89]
	v_fma_f64 v[94:95], v[68:69], s[28:29], -v[90:91]
	v_fmac_f64_e32 v[90:91], s[28:29], v[68:69]
	v_mul_f64 v[58:59], v[58:59], s[4:5]
	v_add_f64 v[112:113], v[112:113], v[120:121]
	v_add_f64 v[118:119], v[118:119], v[126:127]
	;; [unrolled: 1-line block ×5, first 2 shown]
	v_mul_f64 v[96:97], v[56:57], s[30:31]
	v_add_f64 v[90:91], v[90:91], v[100:101]
	v_fma_f64 v[100:101], v[68:69], s[0:1], -v[58:59]
	v_mul_f64 v[56:57], v[56:57], s[4:5]
	v_add_f64 v[114:115], v[50:51], -v[54:55]
	v_add_f64 v[104:105], v[104:105], v[112:113]
	v_add_f64 v[110:111], v[110:111], v[118:119]
	v_add_f64 v[94:95], v[94:95], v[102:103]
	v_add_f64 v[100:101], v[100:101], v[108:109]
	v_fma_f64 v[102:103], s[0:1], v[70:71], v[56:57]
	v_add_f64 v[108:109], v[48:49], v[52:53]
	v_add_f64 v[112:113], v[48:49], -v[52:53]
	v_mul_f64 v[52:53], v[114:115], s[30:31]
	v_add_f64 v[92:93], v[92:93], v[98:99]
	v_fma_f64 v[98:99], s[28:29], v[70:71], v[96:97]
	v_add_f64 v[102:103], v[102:103], v[110:111]
	v_fma_f64 v[56:57], v[70:71], s[0:1], -v[56:57]
	v_add_f64 v[110:111], v[50:51], v[54:55]
	v_fma_f64 v[48:49], v[108:109], s[28:29], -v[52:53]
	v_mul_f64 v[54:55], v[112:113], s[30:31]
	v_fmac_f64_e32 v[52:53], s[28:29], v[108:109]
	v_add_f64 v[98:99], v[98:99], v[106:107]
	v_fma_f64 v[96:97], v[70:71], s[28:29], -v[96:97]
	v_fmac_f64_e32 v[58:59], s[0:1], v[68:69]
	v_add_f64 v[106:107], v[56:57], v[64:65]
	v_add_f64 v[68:69], v[52:53], v[60:61]
	v_fma_f64 v[52:53], v[110:111], s[28:29], -v[54:55]
	v_mul_f64 v[56:57], v[114:115], s[34:35]
	v_mul_f64 v[64:65], v[114:115], s[24:25]
	v_add_f64 v[96:97], v[96:97], v[104:105]
	v_add_f64 v[104:105], v[58:59], v[66:67]
	;; [unrolled: 1-line block ×3, first 2 shown]
	v_fma_f64 v[52:53], v[108:109], s[20:21], -v[56:57]
	v_mul_f64 v[58:59], v[112:113], s[34:35]
	v_fmac_f64_e32 v[56:57], s[20:21], v[108:109]
	v_fma_f64 v[60:61], v[108:109], s[22:23], -v[64:65]
	v_fmac_f64_e32 v[64:65], s[22:23], v[108:109]
	v_fma_f64 v[50:51], s[28:29], v[110:111], v[54:55]
	v_add_f64 v[52:53], v[52:53], v[78:79]
	v_fma_f64 v[54:55], s[20:21], v[110:111], v[58:59]
	v_add_f64 v[56:57], v[56:57], v[76:77]
	v_fma_f64 v[58:59], v[110:111], s[20:21], -v[58:59]
	v_add_f64 v[60:61], v[60:61], v[86:87]
	v_add_f64 v[64:65], v[64:65], v[84:85]
	v_mul_f64 v[76:77], v[114:115], s[4:5]
	v_mul_f64 v[78:79], v[112:113], s[4:5]
	;; [unrolled: 1-line block ×4, first 2 shown]
	v_add_f64 v[50:51], v[50:51], v[74:75]
	v_add_f64 v[54:55], v[54:55], v[82:83]
	;; [unrolled: 1-line block ×3, first 2 shown]
	v_mul_f64 v[66:67], v[112:113], s[24:25]
	v_fma_f64 v[72:73], v[108:109], s[0:1], -v[76:77]
	v_fma_f64 v[74:75], s[0:1], v[110:111], v[78:79]
	v_fmac_f64_e32 v[76:77], s[0:1], v[108:109]
	v_fma_f64 v[78:79], v[110:111], s[0:1], -v[78:79]
	v_fma_f64 v[80:81], v[108:109], s[2:3], -v[84:85]
	v_fma_f64 v[82:83], s[2:3], v[110:111], v[86:87]
	v_fmac_f64_e32 v[84:85], s[2:3], v[108:109]
	v_fma_f64 v[86:87], v[110:111], s[2:3], -v[86:87]
	v_mul_lo_u16_e32 v0, 11, v212
	v_add_f64 v[48:49], v[48:49], v[62:63]
	v_fma_f64 v[62:63], s[22:23], v[110:111], v[66:67]
	v_fma_f64 v[66:67], v[110:111], s[22:23], -v[66:67]
	v_add_f64 v[72:73], v[72:73], v[94:95]
	v_add_f64 v[74:75], v[74:75], v[98:99]
	v_add_f64 v[76:77], v[76:77], v[90:91]
	v_add_f64 v[78:79], v[78:79], v[96:97]
	v_add_f64 v[80:81], v[80:81], v[100:101]
	v_add_f64 v[82:83], v[82:83], v[102:103]
	v_add_f64 v[84:85], v[84:85], v[104:105]
	v_add_f64 v[86:87], v[86:87], v[106:107]
	v_lshlrev_b32_e32 v216, 4, v0
	v_add_f64 v[62:63], v[62:63], v[92:93]
	v_add_f64 v[66:67], v[66:67], v[88:89]
	s_barrier
	ds_write_b128 v216, v[44:47]
	ds_write_b128 v216, v[48:51] offset:16
	ds_write_b128 v216, v[52:55] offset:32
	;; [unrolled: 1-line block ×10, first 2 shown]
	s_waitcnt lgkmcnt(0)
	s_barrier
	ds_read_b128 v[76:79], v213
	ds_read_b128 v[80:83], v213 offset:2464
	ds_read_b128 v[84:87], v213 offset:16016
	;; [unrolled: 1-line block ×9, first 2 shown]
	s_movk_i32 s0, 0x4d
	v_cmp_gt_u16_e64 s[0:1], s0, v212
                                        ; implicit-def: $vgpr112_vgpr113
	s_and_saveexec_b64 s[2:3], s[0:1]
	s_cbranch_execz .LBB0_3
; %bb.2:
	ds_read_b128 v[68:71], v213 offset:12320
	ds_read_b128 v[112:115], v213 offset:25872
.LBB0_3:
	s_or_b64 exec, exec, s[2:3]
	s_movk_i32 s2, 0x134
	v_add_co_u32_e32 v0, vcc, s2, v212
	s_movk_i32 s2, 0x1ce
	v_add_co_u32_e32 v1, vcc, s2, v212
	;; [unrolled: 2-line block ×3, first 2 shown]
	s_mov_b32 s2, 0xba2f
	v_mul_u32_u24_sdwa v3, v0, s2 dst_sel:DWORD dst_unused:UNUSED_PAD src0_sel:WORD_0 src1_sel:DWORD
	v_lshrrev_b32_e32 v3, 19, v3
	v_mul_lo_u16_e32 v44, 11, v3
	s_movk_i32 s3, 0x75
	v_sub_u16_e32 v0, v0, v44
	v_mul_u32_u24_sdwa v44, v1, s2 dst_sel:DWORD dst_unused:UNUSED_PAD src0_sel:WORD_0 src1_sel:DWORD
	v_mul_lo_u16_sdwa v60, v212, s3 dst_sel:DWORD dst_unused:UNUSED_PAD src0_sel:BYTE_0 src1_sel:DWORD
	v_lshrrev_b32_e32 v132, 19, v44
	v_sub_u16_sdwa v61, v212, v60 dst_sel:DWORD dst_unused:UNUSED_PAD src0_sel:DWORD src1_sel:BYTE_1
	v_mul_lo_u16_e32 v44, 11, v132
	v_lshrrev_b16_e32 v61, 1, v61
	v_sub_u16_e32 v1, v1, v44
	v_and_b32_e32 v61, 0x7f, v61
	v_lshlrev_b32_e32 v52, 4, v0
	v_lshlrev_b32_e32 v53, 4, v1
	v_add_u16_sdwa v60, v61, v60 dst_sel:DWORD dst_unused:UNUSED_PAD src0_sel:DWORD src1_sel:BYTE_1
	global_load_dwordx4 v[48:51], v52, s[14:15]
	global_load_dwordx4 v[44:47], v53, s[14:15]
	v_mul_u32_u24_sdwa v52, v2, s2 dst_sel:DWORD dst_unused:UNUSED_PAD src0_sel:WORD_0 src1_sel:DWORD
	v_add_u16_e32 v53, 0x302, v212
	v_lshrrev_b16_e32 v134, 3, v60
	v_lshrrev_b32_e32 v133, 19, v52
	v_mul_u32_u24_e32 v54, 0xba2f, v53
	v_mul_lo_u16_e32 v60, 11, v134
	v_mul_lo_u16_e32 v52, 11, v133
	v_lshrrev_b32_e32 v54, 19, v54
	v_add_co_u32_e32 v225, vcc, 0x9a, v212
	v_sub_u16_e32 v60, v212, v60
	v_sub_u16_e32 v2, v2, v52
	v_accvgpr_write_b32 a1, v54
	v_mul_lo_u16_e32 v54, 11, v54
	v_and_b32_e32 v135, 0xff, v60
	v_mul_u32_u24_sdwa v61, v225, s2 dst_sel:DWORD dst_unused:UNUSED_PAD src0_sel:WORD_0 src1_sel:DWORD
	v_lshlrev_b32_e32 v52, 4, v2
	v_sub_u16_e32 v53, v53, v54
	v_lshlrev_b32_e32 v60, 4, v135
	v_lshrrev_b32_e32 v136, 19, v61
	global_load_dwordx4 v[56:59], v52, s[14:15]
	global_load_dwordx4 v[64:67], v60, s[14:15]
	v_lshlrev_b32_e32 v52, 4, v53
	v_mul_lo_u16_e32 v61, 11, v136
	v_accvgpr_write_b32 a6, v53
	global_load_dwordx4 v[52:55], v52, s[14:15]
	v_sub_u16_e32 v137, v225, v61
	v_lshlrev_b32_e32 v60, 4, v137
	global_load_dwordx4 v[60:63], v60, s[14:15]
	s_waitcnt lgkmcnt(0)
	s_barrier
	v_mad_legacy_u16 v0, v3, 22, v0
	v_lshlrev_b32_e32 v0, 4, v0
	v_accvgpr_write_b32 a9, v0
	s_waitcnt vmcnt(5)
	v_mul_f64 v[118:119], v[100:101], v[50:51]
	s_waitcnt vmcnt(4)
	v_mul_f64 v[120:121], v[110:111], v[46:47]
	v_mul_f64 v[122:123], v[108:109], v[46:47]
	v_fma_f64 v[108:109], v[108:109], v[44:45], -v[120:121]
	v_mul_f64 v[116:117], v[102:103], v[50:51]
	v_fmac_f64_e32 v[118:119], v[102:103], v[48:49]
	v_fmac_f64_e32 v[122:123], v[110:111], v[44:45]
	v_fma_f64 v[100:101], v[100:101], v[48:49], -v[116:117]
	v_add_f64 v[102:103], v[98:99], -v[118:119]
	v_add_f64 v[100:101], v[96:97], -v[100:101]
	v_fma_f64 v[96:97], v[96:97], 2.0, -v[100:101]
	v_fma_f64 v[98:99], v[98:99], 2.0, -v[102:103]
	s_waitcnt vmcnt(3)
	v_mul_f64 v[124:125], v[106:107], v[58:59]
	v_mul_f64 v[126:127], v[104:105], v[58:59]
	v_fma_f64 v[110:111], v[104:105], v[56:57], -v[124:125]
	v_add_f64 v[104:105], v[92:93], -v[108:109]
	s_waitcnt vmcnt(2)
	v_mul_f64 v[108:109], v[90:91], v[66:67]
	s_waitcnt vmcnt(1)
	v_mul_f64 v[130:131], v[112:113], v[54:55]
	v_mul_f64 v[128:129], v[114:115], v[54:55]
	v_fmac_f64_e32 v[130:131], v[114:115], v[52:53]
	v_mul_f64 v[114:115], v[88:89], v[66:67]
	v_fma_f64 v[112:113], v[112:113], v[52:53], -v[128:129]
	s_waitcnt vmcnt(0)
	v_mul_f64 v[116:117], v[86:87], v[62:63]
	v_mul_f64 v[118:119], v[84:85], v[62:63]
	v_fma_f64 v[88:89], v[88:89], v[64:65], -v[108:109]
	v_fmac_f64_e32 v[114:115], v[90:91], v[64:65]
	v_fma_f64 v[90:91], v[84:85], v[60:61], -v[116:117]
	v_fmac_f64_e32 v[118:119], v[86:87], v[60:61]
	v_add_f64 v[84:85], v[76:77], -v[88:89]
	v_add_f64 v[86:87], v[78:79], -v[114:115]
	v_add_f64 v[156:157], v[68:69], -v[112:113]
	v_mul_u32_u24_e32 v112, 22, v134
	v_fma_f64 v[76:77], v[76:77], 2.0, -v[84:85]
	v_fma_f64 v[78:79], v[78:79], 2.0, -v[86:87]
	v_add_lshl_u32 v112, v112, v135, 4
	v_add_f64 v[88:89], v[80:81], -v[90:91]
	v_add_f64 v[90:91], v[82:83], -v[118:119]
	ds_write_b128 v112, v[76:79]
	v_mad_legacy_u16 v76, v136, 22, v137
	v_fma_f64 v[80:81], v[80:81], 2.0, -v[88:89]
	v_fma_f64 v[82:83], v[82:83], 2.0, -v[90:91]
	v_lshlrev_b32_e32 v76, 4, v76
	ds_write_b128 v112, v[84:87] offset:176
	ds_write_b128 v76, v[80:83]
	ds_write_b128 v76, v[88:91] offset:176
	ds_write_b128 v0, v[96:99]
	ds_write_b128 v0, v[100:103] offset:176
	v_mad_legacy_u16 v0, v132, 22, v1
	v_fmac_f64_e32 v[126:127], v[106:107], v[56:57]
	v_lshlrev_b32_e32 v217, 4, v0
	v_mad_legacy_u16 v0, v133, 22, v2
	v_add_f64 v[106:107], v[94:95], -v[122:123]
	v_add_f64 v[108:109], v[72:73], -v[110:111]
	;; [unrolled: 1-line block ×3, first 2 shown]
	v_lshlrev_b32_e32 v0, 4, v0
	v_fma_f64 v[92:93], v[92:93], 2.0, -v[104:105]
	v_fma_f64 v[94:95], v[94:95], 2.0, -v[106:107]
	;; [unrolled: 1-line block ×4, first 2 shown]
	v_add_f64 v[158:159], v[70:71], -v[130:131]
	v_accvgpr_write_b32 a7, v112
	v_accvgpr_write_b32 a8, v76
	;; [unrolled: 1-line block ×3, first 2 shown]
	ds_write_b128 v217, v[92:95]
	ds_write_b128 v217, v[104:107] offset:176
	ds_write_b128 v0, v[72:75]
	ds_write_b128 v0, v[108:111] offset:176
	s_and_saveexec_b64 s[2:3], s[0:1]
	s_cbranch_execz .LBB0_5
; %bb.4:
	v_accvgpr_read_b32 v0, a1
	v_accvgpr_read_b32 v1, a6
	v_mad_legacy_u16 v0, v0, 22, v1
	v_fma_f64 v[70:71], v[70:71], 2.0, -v[158:159]
	v_fma_f64 v[68:69], v[68:69], 2.0, -v[156:157]
	v_lshlrev_b32_e32 v0, 4, v0
	ds_write_b128 v0, v[68:71]
	ds_write_b128 v0, v[156:159] offset:176
.LBB0_5:
	s_or_b64 exec, exec, s[2:3]
	v_lshrrev_b16_e32 v0, 1, v212
	v_and_b32_e32 v0, 0x7f, v0
	v_mul_lo_u16_e32 v0, 0xbb, v0
	v_lshrrev_b16_e32 v132, 11, v0
	v_mul_lo_u16_e32 v0, 22, v132
	v_sub_u16_e32 v0, v212, v0
	v_and_b32_e32 v133, 0xff, v0
	s_movk_i32 s2, 0xa0
	v_pk_mov_b32 v[68:69], s[14:15], s[14:15] op_sel:[0,1]
	v_mad_u64_u32 v[76:77], s[2:3], v133, s2, v[68:69]
	s_waitcnt lgkmcnt(0)
	s_barrier
	global_load_dwordx4 v[92:95], v[76:77], off offset:176
	global_load_dwordx4 v[84:87], v[76:77], off offset:192
	;; [unrolled: 1-line block ×10, first 2 shown]
	ds_read_b128 v[134:137], v213
	ds_read_b128 v[76:79], v213 offset:2464
	ds_read_b128 v[88:91], v213 offset:4928
	;; [unrolled: 1-line block ×10, first 2 shown]
	s_mov_b32 s28, 0xf8bb580b
	s_mov_b32 s20, 0x43842ef
	;; [unrolled: 1-line block ×26, first 2 shown]
	v_mul_u32_u24_e32 v0, 0xf2, v132
	v_add_lshl_u32 v224, v0, v133, 4
	s_waitcnt lgkmcnt(0)
	s_barrier
	s_waitcnt lgkmcnt(0)
                                        ; implicit-def: $vgpr204_vgpr205
                                        ; implicit-def: $vgpr208_vgpr209
	s_waitcnt vmcnt(9)
	v_mul_f64 v[154:155], v[78:79], v[94:95]
	v_mul_f64 v[172:173], v[76:77], v[94:95]
	s_waitcnt vmcnt(8)
	v_mul_f64 v[174:175], v[90:91], v[86:87]
	v_mul_f64 v[176:177], v[88:89], v[86:87]
	;; [unrolled: 3-line block ×3, first 2 shown]
	v_fma_f64 v[76:77], v[76:77], v[92:93], -v[154:155]
	v_fmac_f64_e32 v[172:173], v[78:79], v[92:93]
	v_mul_f64 v[178:179], v[118:119], v[74:75]
	s_waitcnt vmcnt(0)
	v_mul_f64 v[194:195], v[170:171], v[126:127]
	v_mul_f64 v[120:121], v[116:117], v[74:75]
	;; [unrolled: 1-line block ×4, first 2 shown]
	v_fma_f64 v[154:155], v[88:89], v[84:85], -v[174:175]
	v_fmac_f64_e32 v[176:177], v[90:91], v[84:85]
	v_fma_f64 v[88:89], v[142:143], v[112:113], -v[182:183]
	v_fmac_f64_e32 v[80:81], v[144:145], v[112:113]
	v_fma_f64 v[78:79], v[168:169], v[124:125], -v[194:195]
	v_add_f64 v[142:143], v[134:135], v[76:77]
	v_add_f64 v[144:145], v[136:137], v[172:173]
	v_mul_f64 v[180:181], v[140:141], v[70:71]
	v_mul_f64 v[96:97], v[138:139], v[70:71]
	;; [unrolled: 1-line block ×4, first 2 shown]
	v_fma_f64 v[174:175], v[116:117], v[72:73], -v[178:179]
	v_fmac_f64_e32 v[120:121], v[118:119], v[72:73]
	v_fma_f64 v[90:91], v[146:147], v[108:109], -v[184:185]
	v_fma_f64 v[118:119], v[150:151], v[104:105], -v[186:187]
	v_add_f64 v[146:147], v[76:77], v[78:79]
	v_add_f64 v[150:151], v[76:77], -v[78:79]
	v_add_f64 v[76:77], v[142:143], v[154:155]
	v_add_f64 v[142:143], v[144:145], v[176:177]
	v_fma_f64 v[116:117], v[138:139], v[68:69], -v[180:181]
	v_fmac_f64_e32 v[96:97], v[140:141], v[68:69]
	v_add_f64 v[76:77], v[76:77], v[174:175]
	v_add_f64 v[142:143], v[142:143], v[120:121]
	;; [unrolled: 1-line block ×4, first 2 shown]
	v_fmac_f64_e32 v[82:83], v[148:149], v[108:109]
	v_add_f64 v[76:77], v[76:77], v[88:89]
	v_add_f64 v[142:143], v[142:143], v[80:81]
	v_mul_f64 v[188:189], v[162:163], v[102:103]
	v_mul_f64 v[122:123], v[160:161], v[102:103]
	v_fmac_f64_e32 v[98:99], v[152:153], v[104:105]
	v_add_f64 v[76:77], v[76:77], v[90:91]
	v_add_f64 v[142:143], v[142:143], v[82:83]
	v_mul_f64 v[190:191], v[166:167], v[130:131]
	v_mul_f64 v[192:193], v[164:165], v[130:131]
	;; [unrolled: 1-line block ×3, first 2 shown]
	v_fma_f64 v[138:139], v[160:161], v[100:101], -v[188:189]
	v_fmac_f64_e32 v[122:123], v[162:163], v[100:101]
	v_add_f64 v[76:77], v[76:77], v[118:119]
	v_add_f64 v[142:143], v[142:143], v[98:99]
	v_fma_f64 v[140:141], v[164:165], v[128:129], -v[190:191]
	v_fmac_f64_e32 v[192:193], v[166:167], v[128:129]
	v_fmac_f64_e32 v[196:197], v[170:171], v[124:125]
	v_add_f64 v[76:77], v[76:77], v[138:139]
	v_add_f64 v[142:143], v[142:143], v[122:123]
	v_add_f64 v[152:153], v[172:173], -v[196:197]
	v_add_f64 v[76:77], v[76:77], v[140:141]
	v_add_f64 v[142:143], v[142:143], v[192:193]
	;; [unrolled: 1-line block ×5, first 2 shown]
	v_mul_f64 v[142:143], v[152:153], s[28:29]
	v_mul_f64 v[160:161], v[150:151], s[28:29]
	;; [unrolled: 1-line block ×10, first 2 shown]
	v_fma_f64 v[144:145], v[146:147], s[22:23], -v[142:143]
	v_fma_f64 v[162:163], s[22:23], v[148:149], v[160:161]
	v_fmac_f64_e32 v[142:143], s[22:23], v[146:147]
	v_fma_f64 v[160:161], v[148:149], s[22:23], -v[160:161]
	v_fma_f64 v[166:167], v[146:147], s[2:3], -v[164:165]
	v_fma_f64 v[170:171], s[2:3], v[148:149], v[168:169]
	v_fmac_f64_e32 v[164:165], s[2:3], v[146:147]
	v_fma_f64 v[168:169], v[148:149], s[2:3], -v[168:169]
	;; [unrolled: 4-line block ×5, first 2 shown]
	v_add_f64 v[150:151], v[176:177], -v[192:193]
	v_add_f64 v[144:145], v[134:135], v[144:145]
	v_add_f64 v[162:163], v[136:137], v[162:163]
	;; [unrolled: 1-line block ×21, first 2 shown]
	v_mul_f64 v[152:153], v[150:151], s[18:19]
	v_add_f64 v[140:141], v[154:155], -v[140:141]
	v_fma_f64 v[154:155], v[146:147], s[2:3], -v[152:153]
	v_add_f64 v[148:149], v[176:177], v[192:193]
	v_add_f64 v[144:145], v[154:155], v[144:145]
	v_mul_f64 v[154:155], v[140:141], s[18:19]
	v_fmac_f64_e32 v[152:153], s[2:3], v[146:147]
	v_fma_f64 v[176:177], s[2:3], v[148:149], v[154:155]
	v_add_f64 v[142:143], v[152:153], v[142:143]
	v_fma_f64 v[152:153], v[148:149], s[2:3], -v[154:155]
	v_mul_f64 v[154:155], v[150:151], s[26:27]
	v_add_f64 v[152:153], v[152:153], v[160:161]
	v_fma_f64 v[160:161], v[146:147], s[24:25], -v[154:155]
	v_add_f64 v[160:161], v[160:161], v[166:167]
	v_mul_f64 v[166:167], v[140:141], s[26:27]
	v_fmac_f64_e32 v[154:155], s[24:25], v[146:147]
	v_add_f64 v[162:163], v[176:177], v[162:163]
	v_fma_f64 v[176:177], s[24:25], v[148:149], v[166:167]
	v_add_f64 v[154:155], v[154:155], v[164:165]
	v_fma_f64 v[164:165], v[148:149], s[24:25], -v[166:167]
	v_mul_f64 v[166:167], v[150:151], s[40:41]
	v_add_f64 v[170:171], v[176:177], v[170:171]
	v_add_f64 v[164:165], v[164:165], v[168:169]
	v_fma_f64 v[168:169], v[146:147], s[30:31], -v[166:167]
	v_mul_f64 v[176:177], v[140:141], s[40:41]
	v_fmac_f64_e32 v[166:167], s[30:31], v[146:147]
	v_add_f64 v[168:169], v[168:169], v[178:179]
	v_fma_f64 v[178:179], s[30:31], v[148:149], v[176:177]
	v_add_f64 v[166:167], v[166:167], v[172:173]
	v_fma_f64 v[172:173], v[148:149], s[30:31], -v[176:177]
	v_mul_f64 v[176:177], v[150:151], s[38:39]
	v_add_f64 v[178:179], v[178:179], v[182:183]
	v_add_f64 v[172:173], v[172:173], v[180:181]
	v_fma_f64 v[180:181], v[146:147], s[4:5], -v[176:177]
	v_mul_f64 v[182:183], v[140:141], s[38:39]
	v_add_f64 v[180:181], v[180:181], v[186:187]
	v_fma_f64 v[186:187], s[4:5], v[148:149], v[182:183]
	v_fmac_f64_e32 v[176:177], s[4:5], v[146:147]
	v_fma_f64 v[182:183], v[148:149], s[4:5], -v[182:183]
	v_mul_f64 v[150:151], v[150:151], s[36:37]
	v_mul_f64 v[140:141], v[140:141], s[36:37]
	v_add_f64 v[176:177], v[176:177], v[184:185]
	v_add_f64 v[182:183], v[182:183], v[188:189]
	v_fma_f64 v[184:185], v[146:147], s[22:23], -v[150:151]
	v_fma_f64 v[188:189], s[22:23], v[148:149], v[140:141]
	v_fmac_f64_e32 v[150:151], s[22:23], v[146:147]
	v_fma_f64 v[140:141], v[148:149], s[22:23], -v[140:141]
	v_add_f64 v[146:147], v[120:121], v[122:123]
	v_add_f64 v[120:121], v[120:121], -v[122:123]
	v_add_f64 v[136:137], v[140:141], v[136:137]
	v_add_f64 v[140:141], v[174:175], v[138:139]
	v_mul_f64 v[122:123], v[120:121], s[20:21]
	v_add_f64 v[138:139], v[174:175], -v[138:139]
	v_fma_f64 v[148:149], v[140:141], s[4:5], -v[122:123]
	v_add_f64 v[144:145], v[148:149], v[144:145]
	v_mul_f64 v[148:149], v[138:139], s[20:21]
	v_fmac_f64_e32 v[122:123], s[4:5], v[140:141]
	v_add_f64 v[134:135], v[150:151], v[134:135]
	v_fma_f64 v[150:151], s[4:5], v[146:147], v[148:149]
	v_add_f64 v[122:123], v[122:123], v[142:143]
	v_fma_f64 v[142:143], v[146:147], s[4:5], -v[148:149]
	v_mul_f64 v[148:149], v[120:121], s[40:41]
	v_add_f64 v[142:143], v[142:143], v[152:153]
	v_fma_f64 v[152:153], v[140:141], s[30:31], -v[148:149]
	v_add_f64 v[152:153], v[152:153], v[160:161]
	v_mul_f64 v[160:161], v[138:139], s[40:41]
	v_fmac_f64_e32 v[148:149], s[30:31], v[140:141]
	s_mov_b32 s19, 0x3fed1bb4
	v_add_f64 v[150:151], v[150:151], v[162:163]
	v_fma_f64 v[162:163], s[30:31], v[146:147], v[160:161]
	v_add_f64 v[148:149], v[148:149], v[154:155]
	v_fma_f64 v[154:155], v[146:147], s[30:31], -v[160:161]
	v_mul_f64 v[160:161], v[120:121], s[18:19]
	v_add_f64 v[154:155], v[154:155], v[164:165]
	v_fma_f64 v[164:165], v[140:141], s[2:3], -v[160:161]
	v_add_f64 v[164:165], v[164:165], v[168:169]
	v_mul_f64 v[168:169], v[138:139], s[18:19]
	v_fmac_f64_e32 v[160:161], s[2:3], v[140:141]
	v_add_f64 v[162:163], v[162:163], v[170:171]
	v_fma_f64 v[170:171], s[2:3], v[146:147], v[168:169]
	v_add_f64 v[160:161], v[160:161], v[166:167]
	v_fma_f64 v[166:167], v[146:147], s[2:3], -v[168:169]
	v_mul_f64 v[168:169], v[120:121], s[28:29]
	v_add_f64 v[166:167], v[166:167], v[172:173]
	v_fma_f64 v[172:173], v[140:141], s[22:23], -v[168:169]
	v_fmac_f64_e32 v[168:169], s[22:23], v[140:141]
	v_mul_f64 v[120:121], v[120:121], s[26:27]
	v_mul_f64 v[174:175], v[138:139], s[28:29]
	v_add_f64 v[168:169], v[168:169], v[176:177]
	v_fma_f64 v[176:177], v[140:141], s[24:25], -v[120:121]
	v_mul_f64 v[138:139], v[138:139], s[26:27]
	v_fmac_f64_e32 v[120:121], s[24:25], v[140:141]
	v_add_f64 v[172:173], v[172:173], v[180:181]
	v_fma_f64 v[180:181], s[24:25], v[146:147], v[138:139]
	v_add_f64 v[120:121], v[120:121], v[134:135]
	v_fma_f64 v[134:135], v[146:147], s[24:25], -v[138:139]
	v_add_f64 v[138:139], v[96:97], v[98:99]
	v_add_f64 v[96:97], v[96:97], -v[98:99]
	v_add_f64 v[134:135], v[134:135], v[136:137]
	v_add_f64 v[136:137], v[116:117], v[118:119]
	v_add_f64 v[116:117], v[116:117], -v[118:119]
	v_mul_f64 v[98:99], v[96:97], s[26:27]
	v_fma_f64 v[118:119], v[136:137], s[24:25], -v[98:99]
	v_mul_f64 v[140:141], v[116:117], s[26:27]
	v_fmac_f64_e32 v[98:99], s[24:25], v[136:137]
	v_add_f64 v[118:119], v[118:119], v[144:145]
	v_fma_f64 v[144:145], s[24:25], v[138:139], v[140:141]
	v_add_f64 v[98:99], v[98:99], v[122:123]
	v_fma_f64 v[122:123], v[138:139], s[24:25], -v[140:141]
	v_mul_f64 v[140:141], v[96:97], s[38:39]
	v_add_f64 v[122:123], v[122:123], v[142:143]
	v_fma_f64 v[142:143], v[136:137], s[4:5], -v[140:141]
	v_fmac_f64_e32 v[140:141], s[4:5], v[136:137]
	v_add_f64 v[140:141], v[140:141], v[148:149]
	v_mul_f64 v[148:149], v[96:97], s[28:29]
	v_add_f64 v[170:171], v[170:171], v[178:179]
	v_fma_f64 v[178:179], s[22:23], v[146:147], v[174:175]
	v_fma_f64 v[174:175], v[146:147], s[22:23], -v[174:175]
	v_add_f64 v[142:143], v[142:143], v[152:153]
	v_mul_f64 v[146:147], v[116:117], s[38:39]
	v_fma_f64 v[152:153], v[136:137], s[22:23], -v[148:149]
	v_fmac_f64_e32 v[148:149], s[22:23], v[136:137]
	v_add_f64 v[144:145], v[144:145], v[150:151]
	v_fma_f64 v[150:151], s[4:5], v[138:139], v[146:147]
	v_fma_f64 v[146:147], v[138:139], s[4:5], -v[146:147]
	v_add_f64 v[148:149], v[148:149], v[160:161]
	v_mul_f64 v[160:161], v[96:97], s[34:35]
	v_add_f64 v[146:147], v[146:147], v[154:155]
	v_add_f64 v[152:153], v[152:153], v[164:165]
	v_mul_f64 v[154:155], v[116:117], s[28:29]
	v_fma_f64 v[164:165], v[136:137], s[30:31], -v[160:161]
	v_add_f64 v[174:175], v[174:175], v[182:183]
	v_add_f64 v[150:151], v[150:151], v[162:163]
	v_fma_f64 v[162:163], s[22:23], v[138:139], v[154:155]
	v_fma_f64 v[154:155], v[138:139], s[22:23], -v[154:155]
	v_add_f64 v[182:183], v[164:165], v[172:173]
	v_mul_f64 v[164:165], v[116:117], s[34:35]
	v_add_f64 v[184:185], v[184:185], v[194:195]
	v_add_f64 v[154:155], v[154:155], v[166:167]
	v_fma_f64 v[166:167], s[30:31], v[138:139], v[164:165]
	v_fma_f64 v[164:165], v[138:139], s[30:31], -v[164:165]
	v_mul_f64 v[96:97], v[96:97], s[18:19]
	v_add_f64 v[176:177], v[176:177], v[184:185]
	v_add_f64 v[184:185], v[164:165], v[174:175]
	v_fma_f64 v[164:165], v[136:137], s[2:3], -v[96:97]
	v_mul_f64 v[116:117], v[116:117], s[18:19]
	v_fmac_f64_e32 v[96:97], s[2:3], v[136:137]
	v_add_f64 v[188:189], v[188:189], v[196:197]
	v_fmac_f64_e32 v[160:161], s[30:31], v[136:137]
	v_add_f64 v[136:137], v[96:97], v[120:121]
	v_fma_f64 v[96:97], v[138:139], s[2:3], -v[116:117]
	v_add_f64 v[120:121], v[80:81], -v[82:83]
	v_add_f64 v[186:187], v[186:187], v[190:191]
	v_add_f64 v[180:181], v[180:181], v[188:189]
	;; [unrolled: 1-line block ×3, first 2 shown]
	v_fma_f64 v[164:165], s[2:3], v[138:139], v[116:117]
	v_add_f64 v[138:139], v[96:97], v[134:135]
	v_add_f64 v[134:135], v[88:89], v[90:91]
	v_add_f64 v[188:189], v[88:89], -v[90:91]
	v_mul_f64 v[88:89], v[120:121], s[34:35]
	v_add_f64 v[178:179], v[178:179], v[186:187]
	v_add_f64 v[186:187], v[80:81], v[82:83]
	v_fma_f64 v[80:81], v[134:135], s[30:31], -v[88:89]
	v_mul_f64 v[90:91], v[188:189], s[34:35]
	v_fmac_f64_e32 v[88:89], s[30:31], v[134:135]
	v_add_f64 v[180:181], v[164:165], v[180:181]
	v_add_f64 v[164:165], v[88:89], v[98:99]
	v_fma_f64 v[88:89], v[186:187], s[30:31], -v[90:91]
	v_mul_f64 v[96:97], v[120:121], s[36:37]
	v_add_f64 v[178:179], v[166:167], v[178:179]
	v_add_f64 v[166:167], v[88:89], v[122:123]
	v_fma_f64 v[88:89], v[134:135], s[22:23], -v[96:97]
	v_mul_f64 v[98:99], v[188:189], s[36:37]
	v_fmac_f64_e32 v[96:97], s[22:23], v[134:135]
	v_add_f64 v[160:161], v[160:161], v[168:169]
	v_add_f64 v[168:169], v[96:97], v[140:141]
	v_fma_f64 v[96:97], v[186:187], s[22:23], -v[98:99]
	v_mul_f64 v[116:117], v[120:121], s[26:27]
	v_add_f64 v[162:163], v[162:163], v[170:171]
	v_add_f64 v[80:81], v[80:81], v[118:119]
	v_add_f64 v[170:171], v[96:97], v[146:147]
	v_fma_f64 v[96:97], v[134:135], s[24:25], -v[116:117]
	v_mul_f64 v[118:119], v[188:189], s[26:27]
	v_fmac_f64_e32 v[116:117], s[24:25], v[134:135]
	v_add_f64 v[172:173], v[116:117], v[148:149]
	v_fma_f64 v[116:117], v[186:187], s[24:25], -v[118:119]
	v_mul_f64 v[122:123], v[120:121], s[18:19]
	v_add_f64 v[174:175], v[116:117], v[154:155]
	v_fma_f64 v[116:117], v[134:135], s[2:3], -v[122:123]
	v_mul_f64 v[140:141], v[188:189], s[18:19]
	v_fmac_f64_e32 v[122:123], s[2:3], v[134:135]
	v_fma_f64 v[82:83], s[30:31], v[186:187], v[90:91]
	v_fma_f64 v[90:91], s[22:23], v[186:187], v[98:99]
	;; [unrolled: 1-line block ×4, first 2 shown]
	v_add_f64 v[160:161], v[122:123], v[160:161]
	v_fma_f64 v[122:123], v[186:187], s[2:3], -v[140:141]
	v_mul_f64 v[140:141], v[120:121], s[20:21]
	v_add_f64 v[88:89], v[88:89], v[142:143]
	v_fma_f64 v[120:121], v[134:135], s[4:5], -v[140:141]
	v_mul_f64 v[142:143], v[188:189], s[20:21]
	v_fmac_f64_e32 v[140:141], s[4:5], v[134:135]
	v_add_f64 v[98:99], v[98:99], v[162:163]
	v_add_f64 v[162:163], v[122:123], v[184:185]
	v_fma_f64 v[122:123], s[4:5], v[186:187], v[142:143]
	v_add_f64 v[134:135], v[140:141], v[136:137]
	v_fma_f64 v[136:137], v[186:187], s[4:5], -v[142:143]
	v_add_f64 v[82:83], v[82:83], v[144:145]
	v_add_f64 v[90:91], v[90:91], v[150:151]
	;; [unrolled: 1-line block ×8, first 2 shown]
	ds_write_b128 v224, v[76:79]
	ds_write_b128 v224, v[80:83] offset:352
	ds_write_b128 v224, v[88:91] offset:704
	;; [unrolled: 1-line block ×10, first 2 shown]
	s_waitcnt lgkmcnt(0)
	s_barrier
	ds_read_b128 v[176:179], v213
	ds_read_b128 v[200:203], v213 offset:3872
	ds_read_b128 v[196:199], v213 offset:7744
	;; [unrolled: 1-line block ×6, first 2 shown]
	s_movk_i32 s2, 0x58
	v_cmp_gt_u16_e64 s[2:3], s2, v212
	s_and_saveexec_b64 s[4:5], s[2:3]
	s_cbranch_execz .LBB0_7
; %bb.6:
	ds_read_b128 v[160:163], v213 offset:2464
	ds_read_b128 v[172:175], v213 offset:6336
	;; [unrolled: 1-line block ×7, first 2 shown]
.LBB0_7:
	s_or_b64 exec, exec, s[4:5]
	s_movk_i32 s4, 0x60
	v_pk_mov_b32 v[76:77], s[14:15], s[14:15] op_sel:[0,1]
	v_mad_u64_u32 v[76:77], s[4:5], v212, s4, v[76:77]
	v_add_u32_e32 v0, 0xffffffa8, v212
	global_load_dwordx4 v[144:147], v[76:77], off offset:3696
	global_load_dwordx4 v[140:143], v[76:77], off offset:3712
	;; [unrolled: 1-line block ×6, first 2 shown]
	v_cndmask_b32_e64 v0, v0, v225, s[2:3]
	v_mul_hi_i32_i24_e32 v2, 0x60, v0
	v_mul_i32_i24_e32 v0, 0x60, v0
	v_mov_b32_e32 v1, s15
	v_add_co_u32_e32 v120, vcc, s14, v0
	v_addc_co_u32_e32 v121, vcc, v1, v2, vcc
	global_load_dwordx4 v[96:99], v[120:121], off offset:3696
	global_load_dwordx4 v[88:91], v[120:121], off offset:3712
	;; [unrolled: 1-line block ×5, first 2 shown]
	s_nop 0
	global_load_dwordx4 v[120:123], v[120:121], off offset:3776
	s_mov_b32 s20, 0xe976ee23
	s_mov_b32 s14, 0x37e14327
	s_mov_b32 s4, 0x36b3c0b5
	s_mov_b32 s21, 0xbfe11646
	s_mov_b32 s18, 0x429ad128
	s_mov_b32 s22, 0xaaaaaaaa
	s_mov_b32 s15, 0x3fe948f6
	s_mov_b32 s5, 0x3fac98ee
	s_mov_b32 s19, 0x3febfeb5
	s_mov_b32 s23, 0xbff2aaaa
	s_mov_b32 s24, 0x5476071b
	s_mov_b32 s28, 0xb247c609
	s_mov_b32 s25, 0x3fe77f67
	s_mov_b32 s27, 0xbfe77f67
	s_mov_b32 s26, s24
	s_mov_b32 s29, 0x3fd5d0dc
	s_mov_b32 s35, 0xbfd5d0dc
	s_mov_b32 s34, s28
	s_mov_b32 s30, 0x37c3f68c
	s_mov_b32 s31, 0x3fdc38aa
	s_waitcnt vmcnt(11) lgkmcnt(5)
	v_mul_f64 v[226:227], v[202:203], v[146:147]
	v_mul_f64 v[228:229], v[200:201], v[146:147]
	s_waitcnt vmcnt(10) lgkmcnt(4)
	v_mul_f64 v[230:231], v[198:199], v[142:143]
	v_mul_f64 v[232:233], v[196:197], v[142:143]
	s_waitcnt vmcnt(7) lgkmcnt(1)
	v_mul_f64 v[242:243], v[186:187], v[154:155]
	s_waitcnt vmcnt(6) lgkmcnt(0)
	v_mul_f64 v[246:247], v[182:183], v[150:151]
	v_mul_f64 v[248:249], v[180:181], v[150:151]
	;; [unrolled: 1-line block ×6, first 2 shown]
	v_fma_f64 v[200:201], v[200:201], v[144:145], -v[226:227]
	v_fmac_f64_e32 v[228:229], v[202:203], v[144:145]
	v_fma_f64 v[196:197], v[196:197], v[140:141], -v[230:231]
	v_fma_f64 v[184:185], v[184:185], v[152:153], -v[242:243]
	;; [unrolled: 1-line block ×3, first 2 shown]
	v_fmac_f64_e32 v[248:249], v[182:183], v[148:149]
	v_mul_f64 v[240:241], v[188:189], v[134:135]
	v_fmac_f64_e32 v[232:233], v[198:199], v[140:141]
	v_fma_f64 v[192:193], v[192:193], v[136:137], -v[234:235]
	v_fmac_f64_e32 v[236:237], v[194:195], v[136:137]
	v_fma_f64 v[188:189], v[188:189], v[132:133], -v[238:239]
	v_fmac_f64_e32 v[244:245], v[186:187], v[152:153]
	s_waitcnt vmcnt(4)
	v_mul_f64 v[194:195], v[168:169], v[90:91]
	v_add_f64 v[234:235], v[200:201], v[180:181]
	v_add_f64 v[252:253], v[228:229], v[248:249]
	v_add_f64 v[180:181], v[200:201], -v[180:181]
	v_add_f64 v[200:201], v[228:229], -v[248:249]
	v_add_f64 v[228:229], v[196:197], v[184:185]
	v_fmac_f64_e32 v[240:241], v[190:191], v[132:133]
	v_mul_f64 v[186:187], v[172:173], v[98:99]
	v_mul_f64 v[190:191], v[170:171], v[90:91]
	v_add_f64 v[248:249], v[232:233], v[244:245]
	v_add_f64 v[184:185], v[196:197], -v[184:185]
	v_add_f64 v[196:197], v[232:233], -v[244:245]
	v_add_f64 v[232:233], v[192:193], v[188:189]
	v_fmac_f64_e32 v[194:195], v[170:171], v[88:89]
	v_add_f64 v[170:171], v[228:229], v[234:235]
	v_mul_f64 v[182:183], v[174:175], v[98:99]
	s_waitcnt vmcnt(3)
	v_mul_f64 v[198:199], v[166:167], v[82:83]
	v_mul_f64 v[238:239], v[164:165], v[82:83]
	s_waitcnt vmcnt(1)
	v_mul_f64 v[246:247], v[204:205], v[118:119]
	s_waitcnt vmcnt(0)
	v_mul_f64 v[230:231], v[210:211], v[122:123]
	v_mul_f64 v[250:251], v[208:209], v[122:123]
	v_add_f64 v[244:245], v[236:237], v[240:241]
	v_add_f64 v[188:189], v[188:189], -v[192:193]
	v_add_f64 v[192:193], v[240:241], -v[236:237]
	v_fmac_f64_e32 v[186:187], v[174:175], v[96:97]
	v_add_f64 v[174:175], v[248:249], v[252:253]
	v_add_f64 v[170:171], v[232:233], v[170:171]
	v_mul_f64 v[202:203], v[158:159], v[78:79]
	v_mul_f64 v[242:243], v[156:157], v[78:79]
	;; [unrolled: 1-line block ×3, first 2 shown]
	v_fma_f64 v[172:173], v[172:173], v[96:97], -v[182:183]
	v_fma_f64 v[164:165], v[164:165], v[80:81], -v[198:199]
	v_fmac_f64_e32 v[238:239], v[166:167], v[80:81]
	v_fmac_f64_e32 v[246:247], v[206:207], v[116:117]
	v_fma_f64 v[166:167], v[208:209], v[120:121], -v[230:231]
	v_fmac_f64_e32 v[250:251], v[210:211], v[120:121]
	v_add_f64 v[182:183], v[228:229], -v[234:235]
	v_add_f64 v[206:207], v[232:233], -v[228:229]
	v_add_f64 v[198:199], v[188:189], v[184:185]
	v_add_f64 v[210:211], v[192:193], v[196:197]
	v_add_f64 v[228:229], v[192:193], -v[196:197]
	v_add_f64 v[230:231], v[196:197], -v[200:201]
	v_add_f64 v[174:175], v[244:245], v[174:175]
	v_add_f64 v[196:197], v[176:177], v[170:171]
	v_fma_f64 v[156:157], v[156:157], v[76:77], -v[202:203]
	v_fmac_f64_e32 v[242:243], v[158:159], v[76:77]
	v_fma_f64 v[158:159], v[204:205], v[116:117], -v[226:227]
	v_add_f64 v[202:203], v[234:235], -v[232:233]
	v_add_f64 v[204:205], v[252:253], -v[244:245]
	v_add_f64 v[208:209], v[244:245], -v[248:249]
	v_add_f64 v[226:227], v[188:189], -v[184:185]
	v_add_f64 v[188:189], v[180:181], -v[188:189]
	v_add_f64 v[184:185], v[184:185], -v[180:181]
	v_add_f64 v[180:181], v[198:199], v[180:181]
	v_add_f64 v[198:199], v[178:179], v[174:175]
	v_mul_f64 v[234:235], v[228:229], s[20:21]
	v_pk_mov_b32 v[228:229], v[196:197], v[196:197] op_sel:[0,1]
	v_fma_f64 v[168:169], v[168:169], v[88:89], -v[190:191]
	v_add_f64 v[190:191], v[248:249], -v[252:253]
	v_add_f64 v[192:193], v[200:201], -v[192:193]
	v_add_f64 v[200:201], v[210:211], v[200:201]
	v_mul_f64 v[176:177], v[202:203], s[14:15]
	v_mul_f64 v[178:179], v[204:205], s[14:15]
	;; [unrolled: 1-line block ×6, first 2 shown]
	v_fmac_f64_e32 v[228:229], s[22:23], v[170:171]
	v_pk_mov_b32 v[170:171], v[198:199], v[198:199] op_sel:[0,1]
	v_mul_f64 v[226:227], v[230:231], s[18:19]
	v_fmac_f64_e32 v[170:171], s[22:23], v[174:175]
	v_fma_f64 v[174:175], v[182:183], s[24:25], -v[202:203]
	v_fma_f64 v[202:203], v[190:191], s[24:25], -v[204:205]
	;; [unrolled: 1-line block ×3, first 2 shown]
	v_fmac_f64_e32 v[176:177], s[4:5], v[206:207]
	v_fma_f64 v[190:191], v[190:191], s[26:27], -v[178:179]
	v_fmac_f64_e32 v[178:179], s[4:5], v[208:209]
	v_fma_f64 v[184:185], v[184:185], s[18:19], -v[236:237]
	;; [unrolled: 2-line block ×4, first 2 shown]
	v_fma_f64 v[192:193], v[192:193], s[34:35], -v[226:227]
	v_add_f64 v[176:177], v[176:177], v[228:229]
	v_add_f64 v[178:179], v[178:179], v[170:171]
	;; [unrolled: 1-line block ×5, first 2 shown]
	v_fmac_f64_e32 v[236:237], s[30:31], v[180:181]
	v_fmac_f64_e32 v[234:235], s[30:31], v[200:201]
	;; [unrolled: 1-line block ×5, first 2 shown]
	v_add_f64 v[182:183], v[182:183], v[228:229]
	v_fmac_f64_e32 v[192:193], s[30:31], v[200:201]
	v_add_f64 v[200:201], v[234:235], v[176:177]
	v_add_f64 v[202:203], v[178:179], -v[236:237]
	v_add_f64 v[206:207], v[170:171], -v[188:189]
	;; [unrolled: 1-line block ×3, first 2 shown]
	v_add_f64 v[210:211], v[184:185], v[232:233]
	v_add_f64 v[226:227], v[230:231], v[174:175]
	v_add_f64 v[228:229], v[232:233], -v[184:185]
	v_add_f64 v[232:233], v[188:189], v[170:171]
	v_add_f64 v[234:235], v[176:177], -v[234:235]
	v_add_f64 v[236:237], v[236:237], v[178:179]
	v_add_f64 v[170:171], v[172:173], v[166:167]
	v_add_f64 v[174:175], v[186:187], v[250:251]
	v_add_f64 v[176:177], v[168:169], v[158:159]
	v_add_f64 v[178:179], v[194:195], v[246:247]
	v_add_f64 v[204:205], v[192:193], v[182:183]
	v_add_f64 v[230:231], v[182:183], -v[192:193]
	v_add_f64 v[166:167], v[172:173], -v[166:167]
	;; [unrolled: 1-line block ×5, first 2 shown]
	v_add_f64 v[180:181], v[164:165], v[156:157]
	v_add_f64 v[182:183], v[238:239], v[242:243]
	v_add_f64 v[156:157], v[156:157], -v[164:165]
	v_add_f64 v[164:165], v[242:243], -v[238:239]
	v_add_f64 v[184:185], v[176:177], v[170:171]
	v_add_f64 v[186:187], v[178:179], v[174:175]
	v_add_f64 v[188:189], v[176:177], -v[170:171]
	v_add_f64 v[190:191], v[178:179], -v[174:175]
	;; [unrolled: 1-line block ×6, first 2 shown]
	v_add_f64 v[170:171], v[156:157], v[158:159]
	v_add_f64 v[194:195], v[164:165], v[168:169]
	v_add_f64 v[238:239], v[156:157], -v[158:159]
	v_add_f64 v[240:241], v[164:165], -v[168:169]
	;; [unrolled: 1-line block ×4, first 2 shown]
	v_add_f64 v[180:181], v[180:181], v[184:185]
	v_add_f64 v[182:183], v[182:183], v[186:187]
	v_add_f64 v[156:157], v[166:167], -v[156:157]
	v_add_f64 v[164:165], v[172:173], -v[164:165]
	v_add_f64 v[166:167], v[170:171], v[166:167]
	v_add_f64 v[244:245], v[194:195], v[172:173]
	;; [unrolled: 1-line block ×4, first 2 shown]
	v_mul_f64 v[160:161], v[192:193], s[14:15]
	v_mul_f64 v[162:163], v[174:175], s[14:15]
	v_mul_f64 v[174:175], v[176:177], s[4:5]
	v_mul_f64 v[184:185], v[178:179], s[4:5]
	v_mul_f64 v[186:187], v[238:239], s[20:21]
	v_mul_f64 v[172:173], v[240:241], s[20:21]
	v_mul_f64 v[192:193], v[158:159], s[18:19]
	v_mul_f64 v[194:195], v[242:243], s[18:19]
	v_fma_f64 v[238:239], s[22:23], v[180:181], v[168:169]
	v_fma_f64 v[240:241], s[22:23], v[182:183], v[170:171]
	;; [unrolled: 1-line block ×3, first 2 shown]
	v_fma_f64 v[246:247], v[188:189], s[24:25], -v[174:175]
	v_fma_f64 v[248:249], v[190:191], s[24:25], -v[184:185]
	;; [unrolled: 1-line block ×4, first 2 shown]
	v_fmac_f64_e32 v[162:163], s[4:5], v[178:179]
	v_fma_f64 v[174:175], s[28:29], v[156:157], v[186:187]
	v_fma_f64 v[186:187], v[158:159], s[18:19], -v[186:187]
	v_fma_f64 v[182:183], v[242:243], s[18:19], -v[172:173]
	v_fmac_f64_e32 v[172:173], s[28:29], v[164:165]
	v_fma_f64 v[184:185], v[156:157], s[34:35], -v[192:193]
	v_fma_f64 v[180:181], v[164:165], s[34:35], -v[194:195]
	v_add_f64 v[176:177], v[176:177], v[238:239]
	v_add_f64 v[178:179], v[162:163], v[240:241]
	;; [unrolled: 1-line block ×6, first 2 shown]
	v_fmac_f64_e32 v[174:175], s[30:31], v[166:167]
	v_fmac_f64_e32 v[172:173], s[30:31], v[244:245]
	;; [unrolled: 1-line block ×6, first 2 shown]
	v_add_f64 v[164:165], v[182:183], v[190:191]
	v_add_f64 v[166:167], v[194:195], -v[186:187]
	v_add_f64 v[156:157], v[188:189], -v[180:181]
	v_add_f64 v[158:159], v[184:185], v[192:193]
	v_add_f64 v[160:161], v[176:177], -v[172:173]
	v_add_f64 v[162:163], v[174:175], v[178:179]
	ds_write_b128 v213, v[196:199]
	ds_write_b128 v213, v[200:203] offset:3872
	ds_write_b128 v213, v[204:207] offset:7744
	ds_write_b128 v213, v[208:211] offset:11616
	ds_write_b128 v213, v[226:229] offset:15488
	ds_write_b128 v213, v[230:233] offset:19360
	ds_write_b128 v213, v[234:237] offset:23232
	s_and_saveexec_b64 s[4:5], s[2:3]
	s_cbranch_execz .LBB0_9
; %bb.8:
	v_add_f64 v[196:197], v[186:187], v[194:195]
	v_add_f64 v[194:195], v[190:191], -v[182:183]
	v_add_f64 v[182:183], v[192:193], -v[184:185]
	v_add_f64 v[180:181], v[180:181], v[188:189]
	v_add_f64 v[174:175], v[178:179], -v[174:175]
	v_add_f64 v[172:173], v[172:173], v[176:177]
	ds_write_b128 v213, v[168:171] offset:2464
	ds_write_b128 v213, v[172:175] offset:6336
	;; [unrolled: 1-line block ×7, first 2 shown]
.LBB0_9:
	s_or_b64 exec, exec, s[4:5]
	v_mov_b32_e32 v0, s13
	v_addc_co_u32_e64 v168, vcc, 0, v0, s[6:7]
	s_movk_i32 s4, 0x69e0
	v_add_co_u32_e32 v182, vcc, s4, v215
	v_addc_co_u32_e32 v183, vcc, 0, v168, vcc
	s_movk_i32 s4, 0x6000
	v_add_co_u32_e32 v174, vcc, s4, v215
	v_addc_co_u32_e32 v175, vcc, 0, v168, vcc
	s_waitcnt lgkmcnt(0)
	s_barrier
	global_load_dwordx4 v[174:177], v[174:175], off offset:2528
	ds_read_b128 v[170:173], v213
	s_movk_i32 s4, 0x7000
	s_mov_b32 s20, 0xf8bb580b
	s_mov_b32 s22, 0x8764f0ba
	;; [unrolled: 1-line block ×26, first 2 shown]
	s_waitcnt vmcnt(0) lgkmcnt(0)
	v_mul_f64 v[178:179], v[172:173], v[176:177]
	v_mul_f64 v[180:181], v[170:171], v[176:177]
	v_fma_f64 v[178:179], v[170:171], v[174:175], -v[178:179]
	v_fmac_f64_e32 v[180:181], v[172:173], v[174:175]
	global_load_dwordx4 v[174:177], v[182:183], off offset:2464
	ds_read_b128 v[170:173], v213 offset:2464
	ds_write_b128 v213, v[178:181]
	s_waitcnt vmcnt(0) lgkmcnt(1)
	v_mul_f64 v[178:179], v[172:173], v[176:177]
	v_mul_f64 v[180:181], v[170:171], v[176:177]
	v_fma_f64 v[178:179], v[170:171], v[174:175], -v[178:179]
	v_fmac_f64_e32 v[180:181], v[172:173], v[174:175]
	v_add_co_u32_e32 v174, vcc, s4, v215
	v_addc_co_u32_e32 v175, vcc, 0, v168, vcc
	global_load_dwordx4 v[174:177], v[174:175], off offset:3360
	ds_read_b128 v[170:173], v213 offset:4928
	ds_write_b128 v213, v[178:181] offset:2464
	s_mov_b32 s4, 0x8000
	s_waitcnt vmcnt(0) lgkmcnt(1)
	v_mul_f64 v[178:179], v[172:173], v[176:177]
	v_mul_f64 v[180:181], v[170:171], v[176:177]
	v_fma_f64 v[178:179], v[170:171], v[174:175], -v[178:179]
	v_fmac_f64_e32 v[180:181], v[172:173], v[174:175]
	v_add_co_u32_e32 v174, vcc, s4, v215
	v_addc_co_u32_e32 v175, vcc, 0, v168, vcc
	global_load_dwordx4 v[174:177], v[174:175], off offset:1728
	ds_read_b128 v[170:173], v213 offset:7392
	s_mov_b32 s4, 0x9000
	v_add_co_u32_e32 v182, vcc, s4, v215
	ds_write_b128 v213, v[178:181] offset:4928
	v_addc_co_u32_e32 v183, vcc, 0, v168, vcc
	s_mov_b32 s4, 0xa000
	s_waitcnt vmcnt(0) lgkmcnt(1)
	v_mul_f64 v[178:179], v[172:173], v[176:177]
	v_mul_f64 v[180:181], v[170:171], v[176:177]
	v_fma_f64 v[178:179], v[170:171], v[174:175], -v[178:179]
	v_fmac_f64_e32 v[180:181], v[172:173], v[174:175]
	global_load_dwordx4 v[174:177], v[182:183], off offset:96
	ds_read_b128 v[170:173], v213 offset:9856
	ds_write_b128 v213, v[178:181] offset:7392
	s_waitcnt vmcnt(0) lgkmcnt(1)
	v_mul_f64 v[178:179], v[172:173], v[176:177]
	v_mul_f64 v[180:181], v[170:171], v[176:177]
	v_fma_f64 v[178:179], v[170:171], v[174:175], -v[178:179]
	v_fmac_f64_e32 v[180:181], v[172:173], v[174:175]
	global_load_dwordx4 v[174:177], v[182:183], off offset:2560
	ds_read_b128 v[170:173], v213 offset:12320
	v_add_co_u32_e32 v182, vcc, s4, v215
	ds_write_b128 v213, v[178:181] offset:9856
	v_addc_co_u32_e32 v183, vcc, 0, v168, vcc
	s_mov_b32 s4, 0xb000
	s_waitcnt vmcnt(0) lgkmcnt(1)
	v_mul_f64 v[178:179], v[172:173], v[176:177]
	v_mul_f64 v[180:181], v[170:171], v[176:177]
	v_fma_f64 v[178:179], v[170:171], v[174:175], -v[178:179]
	v_fmac_f64_e32 v[180:181], v[172:173], v[174:175]
	global_load_dwordx4 v[174:177], v[182:183], off offset:928
	ds_read_b128 v[170:173], v213 offset:14784
	ds_write_b128 v213, v[178:181] offset:12320
	s_waitcnt vmcnt(0) lgkmcnt(1)
	v_mul_f64 v[178:179], v[172:173], v[176:177]
	v_mul_f64 v[180:181], v[170:171], v[176:177]
	v_fma_f64 v[178:179], v[170:171], v[174:175], -v[178:179]
	v_fmac_f64_e32 v[180:181], v[172:173], v[174:175]
	global_load_dwordx4 v[174:177], v[182:183], off offset:3392
	ds_read_b128 v[170:173], v213 offset:17248
	ds_write_b128 v213, v[178:181] offset:14784
	s_waitcnt vmcnt(0) lgkmcnt(1)
	v_mul_f64 v[178:179], v[172:173], v[176:177]
	v_mul_f64 v[180:181], v[170:171], v[176:177]
	v_fma_f64 v[178:179], v[170:171], v[174:175], -v[178:179]
	v_fmac_f64_e32 v[180:181], v[172:173], v[174:175]
	v_add_co_u32_e32 v174, vcc, s4, v215
	v_addc_co_u32_e32 v175, vcc, 0, v168, vcc
	global_load_dwordx4 v[174:177], v[174:175], off offset:1760
	ds_read_b128 v[170:173], v213 offset:19712
	ds_write_b128 v213, v[178:181] offset:17248
	s_mov_b32 s4, 0xc000
	s_waitcnt vmcnt(0) lgkmcnt(1)
	v_mul_f64 v[178:179], v[172:173], v[176:177]
	v_mul_f64 v[180:181], v[170:171], v[176:177]
	v_fma_f64 v[178:179], v[170:171], v[174:175], -v[178:179]
	v_fmac_f64_e32 v[180:181], v[172:173], v[174:175]
	ds_write_b128 v213, v[178:181] offset:19712
	v_add_co_u32_e32 v178, vcc, s4, v215
	v_addc_co_u32_e32 v179, vcc, 0, v168, vcc
	global_load_dwordx4 v[174:177], v[178:179], off offset:128
	ds_read_b128 v[170:173], v213 offset:22176
	s_mov_b32 s4, 0x43842ef
	s_mov_b32 s5, 0xbfefac9e
	;; [unrolled: 1-line block ×3, first 2 shown]
	s_waitcnt vmcnt(0) lgkmcnt(0)
	v_mul_f64 v[168:169], v[172:173], v[176:177]
	v_fma_f64 v[168:169], v[170:171], v[174:175], -v[168:169]
	v_mul_f64 v[170:171], v[170:171], v[176:177]
	v_fmac_f64_e32 v[170:171], v[172:173], v[174:175]
	global_load_dwordx4 v[172:175], v[178:179], off offset:2592
	ds_write_b128 v213, v[168:171] offset:22176
	ds_read_b128 v[168:171], v213 offset:24640
	s_waitcnt vmcnt(0) lgkmcnt(0)
	v_mul_f64 v[176:177], v[170:171], v[174:175]
	v_mul_f64 v[178:179], v[168:169], v[174:175]
	v_fma_f64 v[176:177], v[168:169], v[172:173], -v[176:177]
	v_fmac_f64_e32 v[178:179], v[170:171], v[172:173]
	ds_write_b128 v213, v[176:179] offset:24640
	s_waitcnt lgkmcnt(0)
	s_barrier
	ds_read_b128 v[192:195], v213
	ds_read_b128 v[196:199], v213 offset:2464
	ds_read_b128 v[200:203], v213 offset:4928
	;; [unrolled: 1-line block ×10, first 2 shown]
	s_waitcnt lgkmcnt(9)
	v_add_f64 v[172:173], v[192:193], v[196:197]
	v_add_f64 v[174:175], v[194:195], v[198:199]
	s_waitcnt lgkmcnt(8)
	v_add_f64 v[172:173], v[172:173], v[200:201]
	v_add_f64 v[174:175], v[174:175], v[202:203]
	;; [unrolled: 3-line block ×8, first 2 shown]
	s_waitcnt lgkmcnt(1)
	v_add_f64 v[172:173], v[172:173], v[208:209]
	s_waitcnt lgkmcnt(0)
	v_add_f64 v[232:233], v[198:199], v[228:229]
	v_add_f64 v[198:199], v[198:199], -v[228:229]
	v_add_f64 v[174:175], v[174:175], v[210:211]
	v_add_f64 v[172:173], v[172:173], v[226:227]
	;; [unrolled: 1-line block ×3, first 2 shown]
	v_add_f64 v[196:197], v[196:197], -v[226:227]
	v_mul_f64 v[226:227], v[198:199], s[20:21]
	v_mul_f64 v[234:235], v[232:233], s[22:23]
	;; [unrolled: 1-line block ×10, first 2 shown]
	v_add_f64 v[174:175], v[174:175], v[228:229]
	v_fma_f64 v[228:229], s[22:23], v[230:231], v[226:227]
	v_fma_f64 v[236:237], s[24:25], v[196:197], v[234:235]
	v_fma_f64 v[226:227], v[230:231], s[22:23], -v[226:227]
	v_fmac_f64_e32 v[234:235], s[20:21], v[196:197]
	v_fma_f64 v[240:241], s[12:13], v[230:231], v[238:239]
	v_fma_f64 v[244:245], s[14:15], v[196:197], v[242:243]
	v_fma_f64 v[238:239], v[230:231], s[12:13], -v[238:239]
	v_fmac_f64_e32 v[242:243], s[6:7], v[196:197]
	;; [unrolled: 4-line block ×5, first 2 shown]
	v_add_f64 v[228:229], v[192:193], v[228:229]
	v_add_f64 v[236:237], v[194:195], v[236:237]
	;; [unrolled: 1-line block ×21, first 2 shown]
	v_add_f64 v[198:199], v[200:201], -v[208:209]
	v_add_f64 v[200:201], v[202:203], -v[210:211]
	v_add_f64 v[196:197], v[202:203], v[210:211]
	v_mul_f64 v[202:203], v[200:201], s[6:7]
	v_fma_f64 v[208:209], s[12:13], v[194:195], v[202:203]
	v_mul_f64 v[210:211], v[196:197], s[12:13]
	v_fma_f64 v[202:203], v[194:195], s[12:13], -v[202:203]
	v_add_f64 v[208:209], v[208:209], v[228:229]
	v_fma_f64 v[228:229], s[14:15], v[198:199], v[210:211]
	v_add_f64 v[202:203], v[202:203], v[226:227]
	v_fmac_f64_e32 v[210:211], s[6:7], v[198:199]
	v_mul_f64 v[226:227], v[200:201], s[28:29]
	v_mul_f64 v[232:233], v[196:197], s[30:31]
	v_add_f64 v[228:229], v[228:229], v[236:237]
	v_add_f64 v[210:211], v[210:211], v[234:235]
	v_fma_f64 v[230:231], s[30:31], v[194:195], v[226:227]
	v_fma_f64 v[234:235], s[34:35], v[198:199], v[232:233]
	v_fma_f64 v[226:227], v[194:195], s[30:31], -v[226:227]
	v_mul_f64 v[236:237], v[200:201], s[40:41]
	v_add_f64 v[234:235], v[234:235], v[244:245]
	v_add_f64 v[226:227], v[226:227], v[238:239]
	v_fma_f64 v[238:239], s[38:39], v[194:195], v[236:237]
	v_fma_f64 v[236:237], v[194:195], s[38:39], -v[236:237]
	v_mul_f64 v[244:245], v[200:201], s[26:27]
	v_add_f64 v[236:237], v[236:237], v[246:247]
	v_fma_f64 v[246:247], s[18:19], v[194:195], v[244:245]
	v_add_f64 v[218:219], v[246:247], v[218:219]
	v_mul_f64 v[246:247], v[196:197], s[18:19]
	v_add_f64 v[238:239], v[238:239], v[248:249]
	v_fma_f64 v[248:249], s[4:5], v[198:199], v[246:247]
	v_fmac_f64_e32 v[246:247], s[26:27], v[198:199]
	v_mul_f64 v[200:201], v[200:201], s[24:25]
	v_add_f64 v[230:231], v[230:231], v[240:241]
	v_mul_f64 v[240:241], v[196:197], s[38:39]
	v_add_f64 v[220:221], v[246:247], v[220:221]
	v_fma_f64 v[246:247], s[22:23], v[194:195], v[200:201]
	v_mul_f64 v[196:197], v[196:197], s[22:23]
	v_add_f64 v[214:215], v[246:247], v[214:215]
	v_fma_f64 v[246:247], s[20:21], v[198:199], v[196:197]
	v_fmac_f64_e32 v[196:197], s[24:25], v[198:199]
	v_fmac_f64_e32 v[232:233], s[28:29], v[198:199]
	v_fma_f64 v[244:245], v[194:195], s[18:19], -v[244:245]
	v_fma_f64 v[194:195], v[194:195], s[22:23], -v[200:201]
	v_add_f64 v[192:193], v[196:197], v[192:193]
	v_add_f64 v[196:197], v[190:191], v[206:207]
	v_add_f64 v[190:191], v[190:191], -v[206:207]
	v_add_f64 v[232:233], v[232:233], v[242:243]
	v_fma_f64 v[242:243], s[36:37], v[198:199], v[240:241]
	v_fmac_f64_e32 v[240:241], s[40:41], v[198:199]
	v_add_f64 v[2:3], v[194:195], v[2:3]
	v_add_f64 v[194:195], v[188:189], v[204:205]
	v_add_f64 v[188:189], v[188:189], -v[204:205]
	v_mul_f64 v[198:199], v[190:191], s[4:5]
	v_mul_f64 v[204:205], v[196:197], s[18:19]
	v_fma_f64 v[200:201], s[18:19], v[194:195], v[198:199]
	v_fma_f64 v[206:207], s[26:27], v[188:189], v[204:205]
	v_fma_f64 v[198:199], v[194:195], s[18:19], -v[198:199]
	v_fmac_f64_e32 v[204:205], s[4:5], v[188:189]
	v_add_f64 v[198:199], v[198:199], v[202:203]
	v_add_f64 v[202:203], v[204:205], v[210:211]
	v_mul_f64 v[204:205], v[190:191], s[40:41]
	v_add_f64 v[200:201], v[200:201], v[208:209]
	v_fma_f64 v[208:209], s[38:39], v[194:195], v[204:205]
	v_fma_f64 v[204:205], v[194:195], s[38:39], -v[204:205]
	v_add_f64 v[204:205], v[204:205], v[226:227]
	v_mul_f64 v[226:227], v[190:191], s[14:15]
	v_add_f64 v[208:209], v[208:209], v[230:231]
	v_mul_f64 v[210:211], v[196:197], s[38:39]
	v_fma_f64 v[230:231], s[12:13], v[194:195], v[226:227]
	v_fma_f64 v[226:227], v[194:195], s[12:13], -v[226:227]
	v_add_f64 v[206:207], v[206:207], v[228:229]
	v_fma_f64 v[228:229], s[36:37], v[188:189], v[210:211]
	v_fmac_f64_e32 v[210:211], s[40:41], v[188:189]
	v_add_f64 v[226:227], v[226:227], v[236:237]
	v_mul_f64 v[236:237], v[190:191], s[20:21]
	v_add_f64 v[210:211], v[210:211], v[232:233]
	v_add_f64 v[230:231], v[230:231], v[238:239]
	v_mul_f64 v[232:233], v[196:197], s[12:13]
	v_fma_f64 v[238:239], s[22:23], v[194:195], v[236:237]
	v_add_f64 v[240:241], v[240:241], v[250:251]
	v_add_f64 v[228:229], v[228:229], v[234:235]
	v_fma_f64 v[234:235], s[6:7], v[188:189], v[232:233]
	v_fmac_f64_e32 v[232:233], s[14:15], v[188:189]
	v_add_f64 v[218:219], v[238:239], v[218:219]
	v_mul_f64 v[238:239], v[196:197], s[22:23]
	v_add_f64 v[232:233], v[232:233], v[240:241]
	v_fma_f64 v[240:241], s[24:25], v[188:189], v[238:239]
	v_fmac_f64_e32 v[238:239], s[20:21], v[188:189]
	v_mul_f64 v[190:191], v[190:191], s[28:29]
	v_add_f64 v[220:221], v[238:239], v[220:221]
	v_fma_f64 v[238:239], s[30:31], v[194:195], v[190:191]
	v_mul_f64 v[196:197], v[196:197], s[30:31]
	v_add_f64 v[214:215], v[238:239], v[214:215]
	v_fma_f64 v[238:239], s[34:35], v[188:189], v[196:197]
	v_fmac_f64_e32 v[196:197], s[28:29], v[188:189]
	v_fma_f64 v[190:191], v[194:195], s[30:31], -v[190:191]
	v_add_f64 v[188:189], v[196:197], v[192:193]
	v_add_f64 v[192:193], v[182:183], v[186:187]
	v_add_f64 v[182:183], v[182:183], -v[186:187]
	v_add_f64 v[2:3], v[190:191], v[2:3]
	v_add_f64 v[190:191], v[180:181], v[184:185]
	v_add_f64 v[180:181], v[180:181], -v[184:185]
	v_mul_f64 v[184:185], v[182:183], s[28:29]
	v_fma_f64 v[186:187], s[30:31], v[190:191], v[184:185]
	v_fma_f64 v[184:185], v[190:191], s[30:31], -v[184:185]
	v_add_f64 v[184:185], v[184:185], v[198:199]
	v_mul_f64 v[198:199], v[182:183], s[26:27]
	v_fma_f64 v[236:237], v[194:195], s[22:23], -v[236:237]
	v_add_f64 v[186:187], v[186:187], v[200:201]
	v_mul_f64 v[194:195], v[192:193], s[30:31]
	v_fma_f64 v[200:201], s[18:19], v[190:191], v[198:199]
	v_fma_f64 v[198:199], v[190:191], s[18:19], -v[198:199]
	v_fma_f64 v[196:197], s[34:35], v[180:181], v[194:195]
	v_fmac_f64_e32 v[194:195], s[28:29], v[180:181]
	v_add_f64 v[198:199], v[198:199], v[204:205]
	v_mul_f64 v[204:205], v[182:183], s[20:21]
	v_add_f64 v[194:195], v[194:195], v[202:203]
	v_add_f64 v[200:201], v[200:201], v[208:209]
	v_mul_f64 v[202:203], v[192:193], s[18:19]
	v_fma_f64 v[208:209], s[22:23], v[190:191], v[204:205]
	v_fma_f64 v[204:205], v[190:191], s[22:23], -v[204:205]
	v_add_f64 v[196:197], v[196:197], v[206:207]
	v_fma_f64 v[206:207], s[4:5], v[180:181], v[202:203]
	v_fmac_f64_e32 v[202:203], s[26:27], v[180:181]
	v_add_f64 v[204:205], v[204:205], v[226:227]
	v_mul_f64 v[226:227], v[182:183], s[36:37]
	v_add_f64 v[202:203], v[202:203], v[210:211]
	v_add_f64 v[208:209], v[208:209], v[230:231]
	v_mul_f64 v[210:211], v[192:193], s[22:23]
	v_fma_f64 v[230:231], s[38:39], v[190:191], v[226:227]
	v_add_f64 v[222:223], v[248:249], v[222:223]
	v_add_f64 v[244:245], v[244:245], v[254:255]
	v_add_f64 v[0:1], v[246:247], v[0:1]
	v_add_f64 v[206:207], v[206:207], v[228:229]
	v_fma_f64 v[228:229], s[24:25], v[180:181], v[210:211]
	v_fmac_f64_e32 v[210:211], s[20:21], v[180:181]
	v_add_f64 v[218:219], v[230:231], v[218:219]
	v_mul_f64 v[230:231], v[192:193], s[38:39]
	v_add_f64 v[242:243], v[242:243], v[252:253]
	v_add_f64 v[222:223], v[240:241], v[222:223]
	;; [unrolled: 1-line block ×5, first 2 shown]
	v_fma_f64 v[232:233], s[40:41], v[180:181], v[230:231]
	v_fma_f64 v[226:227], v[190:191], s[38:39], -v[226:227]
	v_add_f64 v[238:239], v[170:171], -v[178:179]
	v_add_f64 v[234:235], v[234:235], v[242:243]
	v_add_f64 v[222:223], v[232:233], v[222:223]
	;; [unrolled: 1-line block ×4, first 2 shown]
	v_add_f64 v[236:237], v[168:169], -v[176:177]
	v_mul_f64 v[168:169], v[238:239], s[36:37]
	v_add_f64 v[228:229], v[228:229], v[234:235]
	v_add_f64 v[234:235], v[170:171], v[178:179]
	v_fma_f64 v[170:171], s[38:39], v[232:233], v[168:169]
	v_fmac_f64_e32 v[230:231], s[36:37], v[180:181]
	v_mul_f64 v[182:183], v[182:183], s[14:15]
	v_add_f64 v[176:177], v[170:171], v[186:187]
	v_mul_f64 v[170:171], v[234:235], s[38:39]
	v_add_f64 v[220:221], v[230:231], v[220:221]
	v_fma_f64 v[230:231], s[12:13], v[190:191], v[182:183]
	v_mul_f64 v[192:193], v[192:193], s[12:13]
	v_fma_f64 v[178:179], s[40:41], v[236:237], v[170:171]
	v_fmac_f64_e32 v[170:171], s[36:37], v[236:237]
	v_add_f64 v[214:215], v[230:231], v[214:215]
	v_fma_f64 v[230:231], s[6:7], v[180:181], v[192:193]
	v_fmac_f64_e32 v[192:193], s[14:15], v[180:181]
	v_fma_f64 v[168:169], v[232:233], s[38:39], -v[168:169]
	v_add_f64 v[170:171], v[170:171], v[194:195]
	v_mul_f64 v[194:195], v[234:235], s[30:31]
	v_add_f64 v[0:1], v[230:231], v[0:1]
	v_fma_f64 v[182:183], v[190:191], s[12:13], -v[182:183]
	v_add_f64 v[230:231], v[192:193], v[188:189]
	v_add_f64 v[168:169], v[168:169], v[184:185]
	v_mul_f64 v[184:185], v[238:239], s[24:25]
	v_mul_f64 v[186:187], v[234:235], s[22:23]
	;; [unrolled: 1-line block ×3, first 2 shown]
	v_fma_f64 v[190:191], s[34:35], v[236:237], v[194:195]
	v_fmac_f64_e32 v[194:195], s[28:29], v[236:237]
	v_add_f64 v[2:3], v[182:183], v[2:3]
	v_fma_f64 v[180:181], s[22:23], v[232:233], v[184:185]
	v_fma_f64 v[182:183], s[20:21], v[236:237], v[186:187]
	v_fmac_f64_e32 v[186:187], s[24:25], v[236:237]
	v_fma_f64 v[188:189], s[30:31], v[232:233], v[192:193]
	v_add_f64 v[194:195], v[194:195], v[210:211]
	v_mul_f64 v[210:211], v[234:235], s[18:19]
	v_add_f64 v[180:181], v[180:181], v[200:201]
	v_add_f64 v[182:183], v[182:183], v[206:207]
	v_fma_f64 v[184:185], v[232:233], s[22:23], -v[184:185]
	v_add_f64 v[186:187], v[186:187], v[202:203]
	v_add_f64 v[188:189], v[188:189], v[208:209]
	v_fma_f64 v[192:193], v[232:233], s[30:31], -v[192:193]
	v_mul_f64 v[200:201], v[238:239], s[14:15]
	v_mul_f64 v[202:203], v[234:235], s[12:13]
	v_mul_f64 v[208:209], v[238:239], s[4:5]
	v_fma_f64 v[206:207], s[26:27], v[236:237], v[210:211]
	v_add_f64 v[178:179], v[178:179], v[196:197]
	v_add_f64 v[184:185], v[184:185], v[198:199]
	;; [unrolled: 1-line block ×3, first 2 shown]
	v_fma_f64 v[196:197], s[12:13], v[232:233], v[200:201]
	v_fma_f64 v[198:199], s[6:7], v[236:237], v[202:203]
	v_fma_f64 v[200:201], v[232:233], s[12:13], -v[200:201]
	v_fmac_f64_e32 v[202:203], s[14:15], v[236:237]
	v_fma_f64 v[204:205], s[18:19], v[232:233], v[208:209]
	v_add_f64 v[206:207], v[206:207], v[0:1]
	v_fma_f64 v[0:1], v[232:233], s[18:19], -v[208:209]
	v_fmac_f64_e32 v[210:211], s[4:5], v[236:237]
	v_add_f64 v[190:191], v[190:191], v[228:229]
	v_add_f64 v[196:197], v[196:197], v[218:219]
	v_add_f64 v[198:199], v[198:199], v[222:223]
	v_add_f64 v[200:201], v[200:201], v[226:227]
	v_add_f64 v[202:203], v[202:203], v[220:221]
	v_add_f64 v[204:205], v[204:205], v[214:215]
	v_add_f64 v[208:209], v[0:1], v[2:3]
	v_add_f64 v[210:211], v[210:211], v[230:231]
	s_barrier
	ds_write_b128 v216, v[172:175]
	ds_write_b128 v216, v[176:179] offset:16
	ds_write_b128 v216, v[180:183] offset:32
	;; [unrolled: 1-line block ×10, first 2 shown]
	s_waitcnt lgkmcnt(0)
	s_barrier
	ds_read_b128 v[188:191], v213
	ds_read_b128 v[204:207], v213 offset:13552
	ds_read_b128 v[184:187], v213 offset:2464
	;; [unrolled: 1-line block ×9, first 2 shown]
	s_and_saveexec_b64 s[4:5], s[0:1]
	s_cbranch_execz .LBB0_11
; %bb.10:
	ds_read_b128 v[168:171], v213 offset:12320
	ds_read_b128 v[164:167], v213 offset:25872
.LBB0_11:
	s_or_b64 exec, exec, s[4:5]
	s_waitcnt lgkmcnt(8)
	v_mul_f64 v[0:1], v[66:67], v[206:207]
	v_mul_f64 v[2:3], v[66:67], v[204:205]
	s_waitcnt lgkmcnt(4)
	v_mul_f64 v[66:67], v[50:51], v[198:199]
	v_mul_f64 v[50:51], v[50:51], v[196:197]
	v_fmac_f64_e32 v[66:67], v[48:49], v[196:197]
	v_fma_f64 v[196:197], v[48:49], v[198:199], -v[50:51]
	s_waitcnt lgkmcnt(2)
	v_mul_f64 v[198:199], v[46:47], v[194:195]
	s_waitcnt lgkmcnt(0)
	v_mul_f64 v[48:49], v[58:59], v[208:209]
	v_fmac_f64_e32 v[0:1], v[64:65], v[204:205]
	v_fma_f64 v[2:3], v[64:65], v[206:207], -v[2:3]
	v_mul_f64 v[64:65], v[62:63], v[202:203]
	v_mul_f64 v[62:63], v[62:63], v[200:201]
	v_fmac_f64_e32 v[198:199], v[44:45], v[192:193]
	v_mul_f64 v[46:47], v[46:47], v[192:193]
	v_fma_f64 v[192:193], v[56:57], v[210:211], -v[48:49]
	v_mul_f64 v[48:49], v[54:55], v[164:165]
	v_fmac_f64_e32 v[64:65], v[60:61], v[200:201]
	v_fma_f64 v[60:61], v[60:61], v[202:203], -v[62:63]
	v_fma_f64 v[44:45], v[44:45], v[194:195], -v[46:47]
	v_mul_f64 v[46:47], v[58:59], v[210:211]
	v_mul_f64 v[194:195], v[54:55], v[166:167]
	v_fma_f64 v[200:201], v[52:53], v[166:167], -v[48:49]
	v_add_f64 v[48:49], v[188:189], -v[0:1]
	v_add_f64 v[50:51], v[190:191], -v[2:3]
	v_fmac_f64_e32 v[46:47], v[56:57], v[208:209]
	v_fmac_f64_e32 v[194:195], v[52:53], v[164:165]
	v_fma_f64 v[52:53], v[188:189], 2.0, -v[48:49]
	v_fma_f64 v[54:55], v[190:191], 2.0, -v[50:51]
	v_add_f64 v[56:57], v[184:185], -v[64:65]
	v_add_f64 v[58:59], v[186:187], -v[60:61]
	v_accvgpr_read_b32 v0, a7
	v_fma_f64 v[60:61], v[184:185], 2.0, -v[56:57]
	v_fma_f64 v[62:63], v[186:187], 2.0, -v[58:59]
	v_add_f64 v[64:65], v[180:181], -v[66:67]
	v_add_f64 v[66:67], v[182:183], -v[196:197]
	s_barrier
	ds_write_b128 v0, v[52:55]
	ds_write_b128 v0, v[48:51] offset:176
	v_accvgpr_read_b32 v0, a8
	v_fma_f64 v[164:165], v[180:181], 2.0, -v[64:65]
	v_fma_f64 v[166:167], v[182:183], 2.0, -v[66:67]
	v_add_f64 v[180:181], v[176:177], -v[198:199]
	v_add_f64 v[182:183], v[178:179], -v[44:45]
	v_add_f64 v[184:185], v[172:173], -v[46:47]
	v_add_f64 v[186:187], v[174:175], -v[192:193]
	ds_write_b128 v0, v[60:63]
	ds_write_b128 v0, v[56:59] offset:176
	v_accvgpr_read_b32 v0, a9
	v_fma_f64 v[176:177], v[176:177], 2.0, -v[180:181]
	v_fma_f64 v[178:179], v[178:179], 2.0, -v[182:183]
	v_fma_f64 v[172:173], v[172:173], 2.0, -v[184:185]
	v_fma_f64 v[174:175], v[174:175], 2.0, -v[186:187]
	v_add_f64 v[44:45], v[168:169], -v[194:195]
	v_add_f64 v[46:47], v[170:171], -v[200:201]
	ds_write_b128 v0, v[164:167]
	ds_write_b128 v0, v[64:67] offset:176
	ds_write_b128 v217, v[176:179]
	ds_write_b128 v217, v[180:183] offset:176
	v_accvgpr_read_b32 v0, a10
	ds_write_b128 v0, v[172:175]
	ds_write_b128 v0, v[184:187] offset:176
	s_and_saveexec_b64 s[4:5], s[0:1]
	s_cbranch_execz .LBB0_13
; %bb.12:
	v_accvgpr_read_b32 v0, a1
	v_accvgpr_read_b32 v1, a6
	v_mad_legacy_u16 v0, v0, 22, v1
	v_fma_f64 v[50:51], v[170:171], 2.0, -v[46:47]
	v_fma_f64 v[48:49], v[168:169], 2.0, -v[44:45]
	v_lshlrev_b32_e32 v0, 4, v0
	ds_write_b128 v0, v[48:51]
	ds_write_b128 v0, v[44:47] offset:176
.LBB0_13:
	s_or_b64 exec, exec, s[4:5]
	s_waitcnt lgkmcnt(0)
	s_barrier
	ds_read_b128 v[48:51], v213
	ds_read_b128 v[52:55], v213 offset:2464
	ds_read_b128 v[56:59], v213 offset:4928
	;; [unrolled: 1-line block ×10, first 2 shown]
	s_waitcnt lgkmcnt(9)
	v_mul_f64 v[0:1], v[94:95], v[54:55]
	v_mul_f64 v[2:3], v[94:95], v[52:53]
	v_fmac_f64_e32 v[0:1], v[92:93], v[52:53]
	v_fma_f64 v[2:3], v[92:93], v[54:55], -v[2:3]
	s_waitcnt lgkmcnt(8)
	v_mul_f64 v[92:93], v[86:87], v[58:59]
	v_mul_f64 v[52:53], v[86:87], v[56:57]
	s_waitcnt lgkmcnt(7)
	v_mul_f64 v[86:87], v[74:75], v[62:63]
	v_fmac_f64_e32 v[92:93], v[84:85], v[56:57]
	v_fma_f64 v[84:85], v[84:85], v[58:59], -v[52:53]
	v_fmac_f64_e32 v[86:87], v[72:73], v[60:61]
	v_mul_f64 v[52:53], v[74:75], v[60:61]
	s_waitcnt lgkmcnt(6)
	v_mul_f64 v[60:61], v[70:71], v[66:67]
	v_fma_f64 v[72:73], v[72:73], v[62:63], -v[52:53]
	v_fmac_f64_e32 v[60:61], v[68:69], v[64:65]
	v_mul_f64 v[52:53], v[70:71], v[64:65]
	s_waitcnt lgkmcnt(3)
	v_mul_f64 v[64:65], v[106:107], v[172:173]
	v_fma_f64 v[70:71], v[104:105], v[174:175], -v[64:65]
	s_waitcnt lgkmcnt(2)
	v_mul_f64 v[64:65], v[102:103], v[176:177]
	v_fma_f64 v[94:95], v[100:101], v[178:179], -v[64:65]
	s_waitcnt lgkmcnt(1)
	v_mul_f64 v[64:65], v[130:131], v[180:181]
	v_mul_f64 v[74:75], v[102:103], v[178:179]
	v_fma_f64 v[102:103], v[128:129], v[182:183], -v[64:65]
	s_waitcnt lgkmcnt(0)
	v_mul_f64 v[64:65], v[126:127], v[184:185]
	v_fma_f64 v[62:63], v[68:69], v[66:67], -v[52:53]
	v_mul_f64 v[68:69], v[106:107], v[174:175]
	v_fma_f64 v[106:107], v[124:125], v[186:187], -v[64:65]
	v_add_f64 v[64:65], v[48:49], v[0:1]
	v_add_f64 v[66:67], v[50:51], v[2:3]
	;; [unrolled: 1-line block ×3, first 2 shown]
	v_mul_f64 v[52:53], v[114:115], v[166:167]
	v_add_f64 v[66:67], v[66:67], v[84:85]
	v_add_f64 v[64:65], v[64:65], v[86:87]
	v_fmac_f64_e32 v[52:53], v[112:113], v[164:165]
	v_mul_f64 v[54:55], v[114:115], v[164:165]
	v_mul_f64 v[56:57], v[110:111], v[170:171]
	v_add_f64 v[66:67], v[66:67], v[72:73]
	v_add_f64 v[64:65], v[64:65], v[60:61]
	v_fma_f64 v[54:55], v[112:113], v[166:167], -v[54:55]
	v_fmac_f64_e32 v[56:57], v[108:109], v[168:169]
	v_mul_f64 v[58:59], v[110:111], v[168:169]
	v_add_f64 v[66:67], v[66:67], v[62:63]
	v_add_f64 v[64:65], v[64:65], v[52:53]
	v_fma_f64 v[58:59], v[108:109], v[170:171], -v[58:59]
	v_fmac_f64_e32 v[68:69], v[104:105], v[172:173]
	v_add_f64 v[66:67], v[66:67], v[54:55]
	v_add_f64 v[64:65], v[64:65], v[56:57]
	v_fmac_f64_e32 v[74:75], v[100:101], v[176:177]
	v_mul_f64 v[100:101], v[130:131], v[182:183]
	v_mul_f64 v[104:105], v[126:127], v[186:187]
	v_add_f64 v[66:67], v[66:67], v[58:59]
	v_add_f64 v[64:65], v[64:65], v[68:69]
	s_mov_b32 s20, 0x8764f0ba
	s_mov_b32 s6, 0xd9c712b6
	;; [unrolled: 1-line block ×5, first 2 shown]
	v_fmac_f64_e32 v[100:101], v[128:129], v[180:181]
	v_fmac_f64_e32 v[104:105], v[124:125], v[184:185]
	v_add_f64 v[66:67], v[66:67], v[70:71]
	v_add_f64 v[64:65], v[64:65], v[74:75]
	;; [unrolled: 1-line block ×3, first 2 shown]
	s_mov_b32 s18, 0xf8bb580b
	s_mov_b32 s21, 0x3feaeb8c
	;; [unrolled: 1-line block ×10, first 2 shown]
	v_add_f64 v[66:67], v[66:67], v[94:95]
	v_add_f64 v[64:65], v[64:65], v[100:101]
	;; [unrolled: 1-line block ×3, first 2 shown]
	v_add_f64 v[0:1], v[0:1], -v[104:105]
	v_add_f64 v[2:3], v[2:3], -v[106:107]
	s_mov_b32 s19, 0xbfe14ced
	v_mul_f64 v[112:113], v[110:111], s[20:21]
	s_mov_b32 s23, 0x3fe14ced
	s_mov_b32 s22, s18
	s_mov_b32 s5, 0xbfed1bb4
	v_mul_f64 v[128:129], v[110:111], s[6:7]
	s_mov_b32 s13, 0x3fed1bb4
	s_mov_b32 s12, s4
	;; [unrolled: 4-line block ×5, first 2 shown]
	v_add_f64 v[66:67], v[66:67], v[102:103]
	v_add_f64 v[64:65], v[64:65], v[104:105]
	v_mul_f64 v[104:105], v[2:3], s[18:19]
	v_fma_f64 v[114:115], s[22:23], v[0:1], v[112:113]
	v_fmac_f64_e32 v[112:113], s[18:19], v[0:1]
	v_mul_f64 v[124:125], v[2:3], s[4:5]
	v_fma_f64 v[130:131], s[12:13], v[0:1], v[128:129]
	v_fmac_f64_e32 v[128:129], s[4:5], v[0:1]
	;; [unrolled: 3-line block ×5, first 2 shown]
	v_add_f64 v[66:67], v[66:67], v[106:107]
	v_fma_f64 v[106:107], s[20:21], v[108:109], v[104:105]
	v_add_f64 v[114:115], v[50:51], v[114:115]
	v_fma_f64 v[104:105], v[108:109], s[20:21], -v[104:105]
	v_add_f64 v[112:113], v[50:51], v[112:113]
	v_fma_f64 v[126:127], s[6:7], v[108:109], v[124:125]
	v_add_f64 v[130:131], v[50:51], v[130:131]
	v_fma_f64 v[124:125], v[108:109], s[6:7], -v[124:125]
	;; [unrolled: 4-line block ×5, first 2 shown]
	v_add_f64 v[0:1], v[50:51], v[110:111]
	v_add_f64 v[50:51], v[84:85], v[102:103]
	v_add_f64 v[84:85], v[84:85], -v[102:103]
	v_add_f64 v[106:107], v[48:49], v[106:107]
	v_add_f64 v[104:105], v[48:49], v[104:105]
	;; [unrolled: 1-line block ×11, first 2 shown]
	v_add_f64 v[92:93], v[92:93], -v[100:101]
	v_mul_f64 v[100:101], v[84:85], s[4:5]
	v_fma_f64 v[102:103], s[6:7], v[48:49], v[100:101]
	v_add_f64 v[102:103], v[102:103], v[106:107]
	v_mul_f64 v[106:107], v[50:51], s[6:7]
	v_fma_f64 v[108:109], s[12:13], v[92:93], v[106:107]
	v_fma_f64 v[100:101], v[48:49], s[6:7], -v[100:101]
	v_fmac_f64_e32 v[106:107], s[4:5], v[92:93]
	v_add_f64 v[100:101], v[100:101], v[104:105]
	v_add_f64 v[104:105], v[106:107], v[112:113]
	v_mul_f64 v[106:107], v[84:85], s[26:27]
	v_fma_f64 v[110:111], s[28:29], v[48:49], v[106:107]
	v_mul_f64 v[112:113], v[50:51], s[28:29]
	v_fma_f64 v[106:107], v[48:49], s[28:29], -v[106:107]
	v_add_f64 v[108:109], v[108:109], v[114:115]
	v_fma_f64 v[114:115], s[30:31], v[92:93], v[112:113]
	v_add_f64 v[106:107], v[106:107], v[124:125]
	v_fmac_f64_e32 v[112:113], s[26:27], v[92:93]
	v_mul_f64 v[124:125], v[84:85], s[38:39]
	v_add_f64 v[110:111], v[110:111], v[126:127]
	v_add_f64 v[112:113], v[112:113], v[128:129]
	v_fma_f64 v[126:127], s[36:37], v[48:49], v[124:125]
	v_mul_f64 v[128:129], v[50:51], s[36:37]
	v_fma_f64 v[124:125], v[48:49], s[36:37], -v[124:125]
	v_add_f64 v[114:115], v[114:115], v[130:131]
	v_fma_f64 v[130:131], s[34:35], v[92:93], v[128:129]
	v_add_f64 v[124:125], v[124:125], v[164:165]
	v_fmac_f64_e32 v[128:129], s[38:39], v[92:93]
	v_mul_f64 v[164:165], v[84:85], s[24:25]
	v_add_f64 v[126:127], v[126:127], v[166:167]
	v_add_f64 v[128:129], v[128:129], v[168:169]
	v_fma_f64 v[166:167], s[14:15], v[48:49], v[164:165]
	v_mul_f64 v[168:169], v[50:51], s[14:15]
	v_mul_f64 v[50:51], v[50:51], s[20:21]
	v_add_f64 v[166:167], v[166:167], v[174:175]
	v_fma_f64 v[164:165], v[48:49], s[14:15], -v[164:165]
	v_mul_f64 v[84:85], v[84:85], s[22:23]
	v_fma_f64 v[174:175], s[18:19], v[92:93], v[50:51]
	v_fmac_f64_e32 v[50:51], s[22:23], v[92:93]
	v_add_f64 v[164:165], v[164:165], v[172:173]
	v_fma_f64 v[172:173], s[20:21], v[48:49], v[84:85]
	v_fma_f64 v[48:49], v[48:49], s[20:21], -v[84:85]
	v_add_f64 v[0:1], v[50:51], v[0:1]
	v_add_f64 v[50:51], v[72:73], v[94:95]
	v_add_f64 v[72:73], v[72:73], -v[94:95]
	v_add_f64 v[2:3], v[48:49], v[2:3]
	v_add_f64 v[48:49], v[86:87], v[74:75]
	v_mul_f64 v[84:85], v[72:73], s[0:1]
	v_add_f64 v[130:131], v[130:131], v[170:171]
	v_fma_f64 v[170:171], s[0:1], v[92:93], v[168:169]
	v_fmac_f64_e32 v[168:169], s[24:25], v[92:93]
	v_add_f64 v[74:75], v[86:87], -v[74:75]
	v_fma_f64 v[86:87], s[14:15], v[48:49], v[84:85]
	v_mul_f64 v[92:93], v[50:51], s[14:15]
	v_fma_f64 v[84:85], v[48:49], s[14:15], -v[84:85]
	v_fma_f64 v[94:95], s[24:25], v[74:75], v[92:93]
	v_add_f64 v[84:85], v[84:85], v[100:101]
	v_fmac_f64_e32 v[92:93], s[0:1], v[74:75]
	v_mul_f64 v[100:101], v[72:73], s[38:39]
	v_add_f64 v[86:87], v[86:87], v[102:103]
	v_add_f64 v[92:93], v[92:93], v[104:105]
	v_fma_f64 v[102:103], s[36:37], v[48:49], v[100:101]
	v_mul_f64 v[104:105], v[50:51], s[36:37]
	v_fma_f64 v[100:101], v[48:49], s[36:37], -v[100:101]
	v_add_f64 v[94:95], v[94:95], v[108:109]
	v_fma_f64 v[108:109], s[34:35], v[74:75], v[104:105]
	v_add_f64 v[100:101], v[100:101], v[106:107]
	v_fmac_f64_e32 v[104:105], s[38:39], v[74:75]
	v_mul_f64 v[106:107], v[72:73], s[12:13]
	v_add_f64 v[102:103], v[102:103], v[110:111]
	v_add_f64 v[104:105], v[104:105], v[112:113]
	v_fma_f64 v[110:111], s[6:7], v[48:49], v[106:107]
	v_mul_f64 v[112:113], v[50:51], s[6:7]
	v_fma_f64 v[106:107], v[48:49], s[6:7], -v[106:107]
	v_add_f64 v[108:109], v[108:109], v[114:115]
	v_fma_f64 v[114:115], s[4:5], v[74:75], v[112:113]
	v_add_f64 v[106:107], v[106:107], v[124:125]
	v_fmac_f64_e32 v[112:113], s[12:13], v[74:75]
	v_mul_f64 v[124:125], v[72:73], s[18:19]
	v_add_f64 v[110:111], v[110:111], v[126:127]
	v_add_f64 v[112:113], v[112:113], v[128:129]
	v_fma_f64 v[126:127], s[20:21], v[48:49], v[124:125]
	v_mul_f64 v[128:129], v[50:51], s[20:21]
	v_mul_f64 v[50:51], v[50:51], s[28:29]
	v_add_f64 v[126:127], v[126:127], v[166:167]
	v_fma_f64 v[124:125], v[48:49], s[20:21], -v[124:125]
	v_mul_f64 v[72:73], v[72:73], s[26:27]
	v_fma_f64 v[166:167], s[30:31], v[74:75], v[50:51]
	v_fmac_f64_e32 v[50:51], s[26:27], v[74:75]
	v_add_f64 v[124:125], v[124:125], v[164:165]
	v_fma_f64 v[164:165], s[28:29], v[48:49], v[72:73]
	v_fma_f64 v[48:49], v[48:49], s[28:29], -v[72:73]
	v_add_f64 v[0:1], v[50:51], v[0:1]
	v_add_f64 v[50:51], v[62:63], v[70:71]
	v_add_f64 v[62:63], v[62:63], -v[70:71]
	v_add_f64 v[2:3], v[48:49], v[2:3]
	v_add_f64 v[48:49], v[60:61], v[68:69]
	v_add_f64 v[60:61], v[60:61], -v[68:69]
	v_mul_f64 v[68:69], v[62:63], s[26:27]
	v_fma_f64 v[70:71], s[28:29], v[48:49], v[68:69]
	v_mul_f64 v[72:73], v[50:51], s[28:29]
	v_fma_f64 v[68:69], v[48:49], s[28:29], -v[68:69]
	v_add_f64 v[114:115], v[114:115], v[130:131]
	v_fma_f64 v[130:131], s[22:23], v[74:75], v[128:129]
	v_fmac_f64_e32 v[128:129], s[18:19], v[74:75]
	v_fma_f64 v[74:75], s[30:31], v[60:61], v[72:73]
	v_add_f64 v[84:85], v[68:69], v[84:85]
	v_fmac_f64_e32 v[72:73], s[26:27], v[60:61]
	v_mul_f64 v[68:69], v[62:63], s[24:25]
	v_add_f64 v[70:71], v[70:71], v[86:87]
	v_add_f64 v[72:73], v[72:73], v[92:93]
	v_fma_f64 v[86:87], s[14:15], v[48:49], v[68:69]
	v_mul_f64 v[92:93], v[50:51], s[14:15]
	v_fma_f64 v[68:69], v[48:49], s[14:15], -v[68:69]
	v_add_f64 v[74:75], v[74:75], v[94:95]
	v_fma_f64 v[94:95], s[0:1], v[60:61], v[92:93]
	v_add_f64 v[100:101], v[68:69], v[100:101]
	v_fmac_f64_e32 v[92:93], s[24:25], v[60:61]
	v_mul_f64 v[68:69], v[62:63], s[18:19]
	v_add_f64 v[86:87], v[86:87], v[102:103]
	v_add_f64 v[92:93], v[92:93], v[104:105]
	v_fma_f64 v[102:103], s[20:21], v[48:49], v[68:69]
	v_mul_f64 v[104:105], v[50:51], s[20:21]
	v_fma_f64 v[68:69], v[48:49], s[20:21], -v[68:69]
	v_add_f64 v[94:95], v[94:95], v[108:109]
	v_fma_f64 v[108:109], s[22:23], v[60:61], v[104:105]
	v_add_f64 v[106:107], v[68:69], v[106:107]
	v_fmac_f64_e32 v[104:105], s[18:19], v[60:61]
	v_mul_f64 v[68:69], v[62:63], s[34:35]
	v_add_f64 v[170:171], v[170:171], v[178:179]
	v_add_f64 v[168:169], v[168:169], v[176:177]
	;; [unrolled: 1-line block ×5, first 2 shown]
	v_fma_f64 v[110:111], s[36:37], v[48:49], v[68:69]
	v_mul_f64 v[112:113], v[50:51], s[36:37]
	v_fma_f64 v[68:69], v[48:49], s[36:37], -v[68:69]
	v_mul_f64 v[62:63], v[62:63], s[12:13]
	v_add_f64 v[130:131], v[130:131], v[170:171]
	v_add_f64 v[128:129], v[128:129], v[168:169]
	;; [unrolled: 1-line block ×4, first 2 shown]
	v_fma_f64 v[114:115], s[38:39], v[60:61], v[112:113]
	v_add_f64 v[124:125], v[68:69], v[124:125]
	v_fma_f64 v[68:69], s[6:7], v[48:49], v[62:63]
	v_mul_f64 v[50:51], v[50:51], s[6:7]
	v_fma_f64 v[48:49], v[48:49], s[6:7], -v[62:63]
	v_add_f64 v[168:169], v[54:55], -v[58:59]
	v_add_f64 v[174:175], v[174:175], v[182:183]
	v_add_f64 v[110:111], v[110:111], v[126:127]
	v_add_f64 v[114:115], v[114:115], v[130:131]
	v_add_f64 v[126:127], v[68:69], v[164:165]
	v_fma_f64 v[68:69], s[4:5], v[60:61], v[50:51]
	v_add_f64 v[2:3], v[48:49], v[2:3]
	v_fmac_f64_e32 v[50:51], s[12:13], v[60:61]
	v_add_f64 v[130:131], v[52:53], v[56:57]
	v_mul_f64 v[48:49], v[168:169], s[34:35]
	v_add_f64 v[166:167], v[166:167], v[174:175]
	v_fmac_f64_e32 v[112:113], s[34:35], v[60:61]
	v_add_f64 v[0:1], v[50:51], v[0:1]
	v_add_f64 v[164:165], v[54:55], v[58:59]
	v_fma_f64 v[50:51], s[36:37], v[130:131], v[48:49]
	v_add_f64 v[112:113], v[112:113], v[128:129]
	v_add_f64 v[128:129], v[68:69], v[166:167]
	v_add_f64 v[166:167], v[52:53], -v[56:57]
	v_add_f64 v[68:69], v[50:51], v[70:71]
	v_mul_f64 v[50:51], v[164:165], s[36:37]
	v_fma_f64 v[52:53], s[38:39], v[166:167], v[50:51]
	v_add_f64 v[70:71], v[52:53], v[74:75]
	v_mul_f64 v[52:53], v[168:169], s[22:23]
	v_fmac_f64_e32 v[50:51], s[34:35], v[166:167]
	v_fma_f64 v[54:55], s[20:21], v[130:131], v[52:53]
	v_add_f64 v[50:51], v[50:51], v[72:73]
	v_add_f64 v[72:73], v[54:55], v[86:87]
	v_mul_f64 v[54:55], v[164:165], s[20:21]
	v_fma_f64 v[56:57], s[18:19], v[166:167], v[54:55]
	v_fma_f64 v[52:53], v[130:131], s[20:21], -v[52:53]
	v_add_f64 v[74:75], v[56:57], v[94:95]
	v_add_f64 v[56:57], v[52:53], v[100:101]
	v_fmac_f64_e32 v[54:55], s[22:23], v[166:167]
	v_mul_f64 v[52:53], v[168:169], s[26:27]
	v_fma_f64 v[48:49], v[130:131], s[36:37], -v[48:49]
	v_add_f64 v[58:59], v[54:55], v[92:93]
	v_fma_f64 v[54:55], s[28:29], v[130:131], v[52:53]
	v_add_f64 v[48:49], v[48:49], v[84:85]
	v_add_f64 v[84:85], v[54:55], v[102:103]
	v_mul_f64 v[54:55], v[164:165], s[28:29]
	v_fma_f64 v[60:61], s[30:31], v[166:167], v[54:55]
	v_fma_f64 v[52:53], v[130:131], s[28:29], -v[52:53]
	v_add_f64 v[86:87], v[60:61], v[108:109]
	v_add_f64 v[60:61], v[52:53], v[106:107]
	v_fmac_f64_e32 v[54:55], s[26:27], v[166:167]
	v_mul_f64 v[52:53], v[168:169], s[12:13]
	v_add_f64 v[62:63], v[54:55], v[104:105]
	v_fma_f64 v[54:55], s[6:7], v[130:131], v[52:53]
	v_add_f64 v[92:93], v[54:55], v[110:111]
	v_mul_f64 v[54:55], v[164:165], s[6:7]
	v_mul_f64 v[104:105], v[168:169], s[0:1]
	;; [unrolled: 1-line block ×3, first 2 shown]
	v_fma_f64 v[94:95], s[4:5], v[166:167], v[54:55]
	v_fma_f64 v[100:101], s[14:15], v[130:131], v[104:105]
	;; [unrolled: 1-line block ×3, first 2 shown]
	v_fma_f64 v[104:105], v[130:131], s[14:15], -v[104:105]
	v_fmac_f64_e32 v[106:107], s[0:1], v[166:167]
	v_add_f64 v[94:95], v[94:95], v[114:115]
	v_fma_f64 v[52:53], v[130:131], s[6:7], -v[52:53]
	v_fmac_f64_e32 v[54:55], s[12:13], v[166:167]
	v_add_f64 v[100:101], v[100:101], v[126:127]
	v_add_f64 v[102:103], v[102:103], v[128:129]
	;; [unrolled: 1-line block ×6, first 2 shown]
	s_barrier
	ds_write_b128 v224, v[64:67]
	ds_write_b128 v224, v[68:71] offset:352
	ds_write_b128 v224, v[72:75] offset:704
	;; [unrolled: 1-line block ×10, first 2 shown]
	s_waitcnt lgkmcnt(0)
	s_barrier
	ds_read_b128 v[64:67], v213
	ds_read_b128 v[104:107], v213 offset:3872
	ds_read_b128 v[100:103], v213 offset:7744
	;; [unrolled: 1-line block ×6, first 2 shown]
	s_and_saveexec_b64 s[0:1], s[2:3]
	s_cbranch_execz .LBB0_15
; %bb.14:
	ds_read_b128 v[52:55], v213 offset:2464
	ds_read_b128 v[60:63], v213 offset:6336
	ds_read_b128 v[56:59], v213 offset:10208
	ds_read_b128 v[48:51], v213 offset:14080
	ds_read_b128 v[44:47], v213 offset:17952
	ds_read_b128 v[156:159], v213 offset:21824
	ds_read_b128 v[160:163], v213 offset:25696
.LBB0_15:
	s_or_b64 exec, exec, s[0:1]
	s_waitcnt lgkmcnt(5)
	v_mul_f64 v[0:1], v[146:147], v[106:107]
	v_fmac_f64_e32 v[0:1], v[144:145], v[104:105]
	v_mul_f64 v[2:3], v[146:147], v[104:105]
	s_waitcnt lgkmcnt(4)
	v_mul_f64 v[104:105], v[142:143], v[102:103]
	v_fmac_f64_e32 v[104:105], v[140:141], v[100:101]
	v_mul_f64 v[100:101], v[142:143], v[100:101]
	v_fma_f64 v[100:101], v[140:141], v[102:103], -v[100:101]
	s_waitcnt lgkmcnt(3)
	v_mul_f64 v[102:103], v[138:139], v[94:95]
	v_fmac_f64_e32 v[102:103], v[136:137], v[92:93]
	v_mul_f64 v[92:93], v[138:139], v[92:93]
	v_fma_f64 v[92:93], v[136:137], v[94:95], -v[92:93]
	;; [unrolled: 5-line block ×5, first 2 shown]
	v_fma_f64 v[68:69], v[148:149], v[70:71], -v[68:69]
	v_add_f64 v[70:71], v[0:1], v[74:75]
	v_add_f64 v[106:107], v[2:3], v[68:69]
	v_add_f64 v[2:3], v[2:3], -v[68:69]
	v_add_f64 v[68:69], v[104:105], v[86:87]
	v_add_f64 v[0:1], v[0:1], -v[74:75]
	;; [unrolled: 2-line block ×3, first 2 shown]
	v_add_f64 v[72:73], v[100:101], -v[72:73]
	v_add_f64 v[100:101], v[102:103], v[94:95]
	v_add_f64 v[104:105], v[92:93], v[84:85]
	v_add_f64 v[84:85], v[84:85], -v[92:93]
	v_add_f64 v[92:93], v[68:69], v[70:71]
	v_add_f64 v[94:95], v[94:95], -v[102:103]
	v_add_f64 v[102:103], v[74:75], v[106:107]
	v_add_f64 v[92:93], v[100:101], v[92:93]
	v_add_f64 v[108:109], v[68:69], -v[70:71]
	v_add_f64 v[70:71], v[70:71], -v[100:101]
	;; [unrolled: 1-line block ×3, first 2 shown]
	v_add_f64 v[100:101], v[104:105], v[102:103]
	v_add_f64 v[64:65], v[64:65], v[92:93]
	s_mov_b32 s6, 0x37e14327
	s_mov_b32 s12, 0x36b3c0b5
	;; [unrolled: 1-line block ×5, first 2 shown]
	v_add_f64 v[110:111], v[74:75], -v[106:107]
	v_add_f64 v[106:107], v[106:107], -v[104:105]
	;; [unrolled: 1-line block ×3, first 2 shown]
	v_add_f64 v[112:113], v[94:95], v[86:87]
	v_add_f64 v[114:115], v[84:85], v[72:73]
	v_add_f64 v[124:125], v[94:95], -v[86:87]
	v_add_f64 v[126:127], v[84:85], -v[72:73]
	;; [unrolled: 1-line block ×4, first 2 shown]
	v_add_f64 v[66:67], v[66:67], v[100:101]
	s_mov_b32 s7, 0x3fe948f6
	s_mov_b32 s13, 0x3fac98ee
	;; [unrolled: 1-line block ×5, first 2 shown]
	v_pk_mov_b32 v[128:129], v[64:65], v[64:65] op_sel:[0,1]
	s_mov_b32 s4, 0x5476071b
	s_mov_b32 s26, 0xb247c609
	v_add_f64 v[94:95], v[0:1], -v[94:95]
	v_add_f64 v[84:85], v[2:3], -v[84:85]
	v_add_f64 v[0:1], v[112:113], v[0:1]
	v_add_f64 v[2:3], v[114:115], v[2:3]
	v_mul_f64 v[70:71], v[70:71], s[6:7]
	v_mul_f64 v[102:103], v[106:107], s[6:7]
	;; [unrolled: 1-line block ×8, first 2 shown]
	v_fmac_f64_e32 v[128:129], s[24:25], v[92:93]
	v_pk_mov_b32 v[92:93], v[66:67], v[66:67] op_sel:[0,1]
	s_mov_b32 s5, 0x3fe77f67
	s_mov_b32 s19, 0xbfe77f67
	;; [unrolled: 1-line block ×7, first 2 shown]
	v_fmac_f64_e32 v[92:93], s[24:25], v[100:101]
	v_fma_f64 v[100:101], v[108:109], s[4:5], -v[104:105]
	v_fma_f64 v[104:105], v[110:111], s[4:5], -v[106:107]
	;; [unrolled: 1-line block ×3, first 2 shown]
	v_fmac_f64_e32 v[70:71], s[12:13], v[68:69]
	v_fma_f64 v[68:69], v[110:111], s[18:19], -v[102:103]
	v_fmac_f64_e32 v[102:103], s[12:13], v[74:75]
	v_fma_f64 v[108:109], v[86:87], s[0:1], -v[112:113]
	;; [unrolled: 2-line block ×4, first 2 shown]
	v_fma_f64 v[126:127], v[84:85], s[22:23], -v[126:127]
	s_mov_b32 s21, 0xbfdc38aa
	v_add_f64 v[130:131], v[70:71], v[128:129]
	v_add_f64 v[132:133], v[102:103], v[92:93]
	;; [unrolled: 1-line block ×6, first 2 shown]
	v_fmac_f64_e32 v[112:113], s[20:21], v[0:1]
	v_fmac_f64_e32 v[114:115], s[20:21], v[2:3]
	;; [unrolled: 1-line block ×6, first 2 shown]
	v_add_f64 v[68:69], v[114:115], v[130:131]
	v_add_f64 v[70:71], v[132:133], -v[112:113]
	v_add_f64 v[72:73], v[126:127], v[102:103]
	v_add_f64 v[74:75], v[104:105], -v[124:125]
	v_add_f64 v[84:85], v[94:95], -v[110:111]
	v_add_f64 v[86:87], v[108:109], v[100:101]
	v_add_f64 v[92:93], v[110:111], v[94:95]
	v_add_f64 v[94:95], v[100:101], -v[108:109]
	v_add_f64 v[100:101], v[102:103], -v[126:127]
	v_add_f64 v[102:103], v[124:125], v[104:105]
	v_add_f64 v[104:105], v[130:131], -v[114:115]
	v_add_f64 v[106:107], v[112:113], v[132:133]
	ds_write_b128 v213, v[64:67]
	ds_write_b128 v213, v[68:71] offset:3872
	ds_write_b128 v213, v[72:75] offset:7744
	;; [unrolled: 1-line block ×6, first 2 shown]
	s_and_saveexec_b64 s[28:29], s[2:3]
	s_cbranch_execz .LBB0_17
; %bb.16:
	v_mul_f64 v[0:1], v[98:99], v[62:63]
	v_fmac_f64_e32 v[0:1], v[96:97], v[60:61]
	v_mul_f64 v[74:75], v[90:91], v[58:59]
	v_mul_f64 v[60:61], v[98:99], v[60:61]
	;; [unrolled: 1-line block ×4, first 2 shown]
	v_fmac_f64_e32 v[74:75], v[88:89], v[56:57]
	v_mul_f64 v[100:101], v[122:123], v[160:161]
	v_fma_f64 v[60:61], v[96:97], v[62:63], -v[60:61]
	v_mul_f64 v[96:97], v[118:119], v[156:157]
	v_mul_f64 v[56:57], v[90:91], v[56:57]
	v_fmac_f64_e32 v[66:67], v[76:77], v[44:45]
	v_fmac_f64_e32 v[68:69], v[80:81], v[48:49]
	v_fma_f64 v[100:101], v[120:121], v[162:163], -v[100:101]
	v_fma_f64 v[96:97], v[116:117], v[158:159], -v[96:97]
	;; [unrolled: 1-line block ×3, first 2 shown]
	v_mul_f64 v[48:49], v[82:83], v[48:49]
	v_mul_f64 v[44:45], v[78:79], v[44:45]
	v_add_f64 v[62:63], v[60:61], v[100:101]
	v_add_f64 v[58:59], v[56:57], v[96:97]
	v_fma_f64 v[48:49], v[80:81], v[50:51], -v[48:49]
	v_fma_f64 v[76:77], v[76:77], v[46:47], -v[44:45]
	v_add_f64 v[88:89], v[58:59], v[62:63]
	v_add_f64 v[44:45], v[48:49], v[76:77]
	;; [unrolled: 1-line block ×4, first 2 shown]
	v_pk_mov_b32 v[78:79], v[46:47], v[46:47] op_sel:[0,1]
	v_mul_f64 v[2:3], v[122:123], v[162:163]
	v_mul_f64 v[84:85], v[118:119], v[158:159]
	v_fmac_f64_e32 v[78:79], s[24:25], v[50:51]
	v_add_f64 v[50:51], v[62:63], -v[44:45]
	v_fmac_f64_e32 v[2:3], v[120:121], v[160:161]
	v_fmac_f64_e32 v[84:85], v[116:117], v[156:157]
	v_mul_f64 v[54:55], v[50:51], s[6:7]
	v_add_f64 v[44:45], v[44:45], -v[58:59]
	v_add_f64 v[64:65], v[0:1], -v[2:3]
	v_mul_f64 v[80:81], v[44:45], s[12:13]
	v_fma_f64 v[44:45], s[12:13], v[44:45], v[54:55]
	v_add_f64 v[0:1], v[0:1], v[2:3]
	v_add_f64 v[2:3], v[74:75], v[84:85]
	v_add_f64 v[70:71], v[66:67], -v[68:69]
	v_add_f64 v[82:83], v[44:45], v[78:79]
	v_add_f64 v[44:45], v[2:3], v[0:1]
	v_add_f64 v[66:67], v[68:69], v[66:67]
	v_add_f64 v[68:69], v[66:67], v[44:45]
	v_add_f64 v[44:45], v[52:53], v[68:69]
	v_add_f64 v[52:53], v[0:1], -v[66:67]
	v_add_f64 v[86:87], v[74:75], -v[84:85]
	v_pk_mov_b32 v[74:75], v[44:45], v[44:45] op_sel:[0,1]
	v_mul_f64 v[52:53], v[52:53], s[6:7]
	v_add_f64 v[66:67], v[66:67], -v[2:3]
	v_add_f64 v[72:73], v[64:65], -v[70:71]
	;; [unrolled: 1-line block ×3, first 2 shown]
	v_add_f64 v[70:71], v[70:71], v[86:87]
	v_fmac_f64_e32 v[74:75], s[24:25], v[68:69]
	v_mul_f64 v[68:69], v[66:67], s[12:13]
	v_fma_f64 v[66:67], s[12:13], v[66:67], v[52:53]
	v_add_f64 v[60:61], v[60:61], -v[100:101]
	v_add_f64 v[48:49], v[76:77], -v[48:49]
	;; [unrolled: 1-line block ×3, first 2 shown]
	v_add_f64 v[70:71], v[70:71], v[64:65]
	v_add_f64 v[84:85], v[66:67], v[74:75]
	v_add_f64 v[66:67], v[60:61], -v[48:49]
	v_add_f64 v[76:77], v[48:49], -v[56:57]
	v_add_f64 v[48:49], v[48:49], v[56:57]
	v_add_f64 v[64:65], v[86:87], -v[64:65]
	v_add_f64 v[0:1], v[2:3], -v[0:1]
	;; [unrolled: 1-line block ×3, first 2 shown]
	v_mul_f64 v[92:93], v[92:93], s[14:15]
	v_mul_f64 v[76:77], v[76:77], s[14:15]
	;; [unrolled: 1-line block ×3, first 2 shown]
	v_add_f64 v[58:59], v[58:59], -v[62:63]
	v_fma_f64 v[2:3], v[0:1], s[18:19], -v[52:53]
	v_mul_f64 v[52:53], v[56:57], s[0:1]
	v_fma_f64 v[94:95], s[26:27], v[72:73], v[92:93]
	v_fma_f64 v[88:89], s[26:27], v[66:67], v[76:77]
	v_add_f64 v[90:91], v[48:49], v[60:61]
	v_fma_f64 v[72:73], v[72:73], s[22:23], -v[86:87]
	v_fma_f64 v[54:55], v[58:59], s[18:19], -v[54:55]
	;; [unrolled: 1-line block ×7, first 2 shown]
	v_fmac_f64_e32 v[94:95], s[20:21], v[70:71]
	v_fmac_f64_e32 v[88:89], s[20:21], v[90:91]
	;; [unrolled: 1-line block ×3, first 2 shown]
	v_add_f64 v[86:87], v[54:55], v[78:79]
	v_add_f64 v[2:3], v[2:3], v[74:75]
	v_fmac_f64_e32 v[96:97], s[20:21], v[90:91]
	v_add_f64 v[60:61], v[58:59], v[78:79]
	v_fmac_f64_e32 v[62:63], s[20:21], v[70:71]
	;; [unrolled: 2-line block ×3, first 2 shown]
	v_add_f64 v[50:51], v[94:95], v[82:83]
	v_add_f64 v[48:49], v[84:85], -v[88:89]
	v_add_f64 v[54:55], v[72:73], v[86:87]
	v_add_f64 v[52:53], v[2:3], -v[96:97]
	v_add_f64 v[58:59], v[60:61], -v[62:63]
	v_add_f64 v[56:57], v[64:65], v[0:1]
	v_add_f64 v[62:63], v[62:63], v[60:61]
	v_add_f64 v[60:61], v[0:1], -v[64:65]
	v_add_f64 v[66:67], v[86:87], -v[72:73]
	v_add_f64 v[64:65], v[96:97], v[2:3]
	v_add_f64 v[70:71], v[82:83], -v[94:95]
	v_add_f64 v[68:69], v[88:89], v[84:85]
	ds_write_b128 v213, v[44:47] offset:2464
	ds_write_b128 v213, v[68:71] offset:6336
	ds_write_b128 v213, v[64:67] offset:10208
	ds_write_b128 v213, v[60:63] offset:14080
	ds_write_b128 v213, v[56:59] offset:17952
	ds_write_b128 v213, v[52:55] offset:21824
	ds_write_b128 v213, v[48:51] offset:25696
.LBB0_17:
	s_or_b64 exec, exec, s[28:29]
	s_waitcnt lgkmcnt(0)
	s_barrier
	ds_read_b128 v[44:47], v213
	v_accvgpr_read_b32 v48, a0
	v_mad_u64_u32 v[0:1], s[0:1], s10, v48, 0
	v_mov_b32_e32 v2, v1
	v_mad_u64_u32 v[2:3], s[0:1], s11, v48, v[2:3]
	ds_read_b128 v[48:51], v213 offset:2464
	v_mov_b32_e32 v1, v2
	s_waitcnt lgkmcnt(1)
	v_mul_f64 v[2:3], v[10:11], v[46:47]
	s_mov_b32 s0, 0xe9078e5b
	v_fmac_f64_e32 v[2:3], v[8:9], v[44:45]
	s_mov_b32 s1, 0x3f4357f3
	v_mul_f64 v[52:53], v[2:3], s[0:1]
	v_mul_f64 v[2:3], v[10:11], v[44:45]
	v_fma_f64 v[2:3], v[8:9], v[46:47], -v[2:3]
	v_mul_f64 v[54:55], v[2:3], s[0:1]
	v_mad_u64_u32 v[2:3], s[2:3], s8, v212, 0
	v_mov_b32_e32 v8, v3
	v_mad_u64_u32 v[8:9], s[2:3], s9, v212, v[8:9]
	v_lshlrev_b64 v[0:1], 4, v[0:1]
	v_accvgpr_read_b32 v47, a5
	v_mov_b32_e32 v3, v8
	v_mov_b32_e32 v8, s17
	v_add_co_u32_e32 v9, vcc, s16, v0
	v_accvgpr_read_b32 v46, a4
	v_addc_co_u32_e32 v8, vcc, v8, v1, vcc
	v_lshlrev_b64 v[0:1], 4, v[2:3]
	v_accvgpr_read_b32 v45, a3
	v_accvgpr_read_b32 v44, a2
	s_waitcnt lgkmcnt(0)
	v_mul_f64 v[2:3], v[46:47], v[50:51]
	v_add_co_u32_e32 v0, vcc, v9, v0
	v_fmac_f64_e32 v[2:3], v[44:45], v[48:49]
	v_addc_co_u32_e32 v1, vcc, v8, v1, vcc
	v_mul_f64 v[8:9], v[2:3], s[0:1]
	v_mul_f64 v[2:3], v[46:47], v[48:49]
	v_fma_f64 v[2:3], v[44:45], v[50:51], -v[2:3]
	v_mov_b32_e32 v50, 0x9a0
	global_store_dwordx4 v[0:1], v[52:55], off
	v_mul_f64 v[10:11], v[2:3], s[0:1]
	v_mad_u64_u32 v[48:49], s[2:3], s8, v50, v[0:1]
	ds_read_b128 v[0:3], v213 offset:4928
	s_mul_i32 s2, s9, 0x9a0
	v_add_u32_e32 v49, s2, v49
	global_store_dwordx4 v[48:49], v[8:11], off
	ds_read_b128 v[8:11], v213 offset:7392
	s_waitcnt lgkmcnt(1)
	v_mul_f64 v[44:45], v[14:15], v[2:3]
	v_fmac_f64_e32 v[44:45], v[12:13], v[0:1]
	v_mul_f64 v[0:1], v[14:15], v[0:1]
	v_fma_f64 v[0:1], v[12:13], v[2:3], -v[0:1]
	v_mul_f64 v[46:47], v[0:1], s[0:1]
	v_mad_u64_u32 v[12:13], s[4:5], s8, v50, v[48:49]
	s_waitcnt lgkmcnt(0)
	v_mul_f64 v[0:1], v[6:7], v[10:11]
	v_mul_f64 v[2:3], v[6:7], v[8:9]
	;; [unrolled: 1-line block ×3, first 2 shown]
	v_add_u32_e32 v13, s2, v13
	v_fmac_f64_e32 v[0:1], v[4:5], v[8:9]
	v_fma_f64 v[2:3], v[4:5], v[10:11], -v[2:3]
	ds_read_b128 v[4:7], v213 offset:9856
	global_store_dwordx4 v[12:13], v[44:47], off
	v_mad_u64_u32 v[12:13], s[4:5], s8, v50, v[12:13]
	v_mul_f64 v[0:1], v[0:1], s[0:1]
	v_mul_f64 v[2:3], v[2:3], s[0:1]
	v_add_u32_e32 v13, s2, v13
	global_store_dwordx4 v[12:13], v[0:3], off
	ds_read_b128 v[0:3], v213 offset:12320
	s_waitcnt lgkmcnt(1)
	v_mul_f64 v[8:9], v[30:31], v[6:7]
	v_fmac_f64_e32 v[8:9], v[28:29], v[4:5]
	v_mul_f64 v[4:5], v[30:31], v[4:5]
	v_fma_f64 v[4:5], v[28:29], v[6:7], -v[4:5]
	v_mul_f64 v[10:11], v[4:5], s[0:1]
	s_waitcnt lgkmcnt(0)
	v_mul_f64 v[4:5], v[18:19], v[2:3]
	v_fmac_f64_e32 v[4:5], v[16:17], v[0:1]
	v_mul_f64 v[0:1], v[18:19], v[0:1]
	v_mad_u64_u32 v[12:13], s[4:5], s8, v50, v[12:13]
	v_fma_f64 v[0:1], v[16:17], v[2:3], -v[0:1]
	v_mul_f64 v[8:9], v[8:9], s[0:1]
	v_add_u32_e32 v13, s2, v13
	v_mul_f64 v[6:7], v[0:1], s[0:1]
	ds_read_b128 v[0:3], v213 offset:14784
	global_store_dwordx4 v[12:13], v[8:11], off
	v_mad_u64_u32 v[12:13], s[4:5], s8, v50, v[12:13]
	v_mul_f64 v[4:5], v[4:5], s[0:1]
	v_add_u32_e32 v13, s2, v13
	global_store_dwordx4 v[12:13], v[4:7], off
	ds_read_b128 v[4:7], v213 offset:17248
	s_waitcnt lgkmcnt(1)
	v_mul_f64 v[8:9], v[38:39], v[2:3]
	v_fmac_f64_e32 v[8:9], v[36:37], v[0:1]
	v_mul_f64 v[0:1], v[38:39], v[0:1]
	v_fma_f64 v[0:1], v[36:37], v[2:3], -v[0:1]
	v_mul_f64 v[10:11], v[0:1], s[0:1]
	v_mad_u64_u32 v[12:13], s[4:5], s8, v50, v[12:13]
	s_waitcnt lgkmcnt(0)
	v_mul_f64 v[0:1], v[22:23], v[6:7]
	v_mul_f64 v[2:3], v[22:23], v[4:5]
	;; [unrolled: 1-line block ×3, first 2 shown]
	v_add_u32_e32 v13, s2, v13
	v_fmac_f64_e32 v[0:1], v[20:21], v[4:5]
	v_fma_f64 v[2:3], v[20:21], v[6:7], -v[2:3]
	ds_read_b128 v[4:7], v213 offset:19712
	global_store_dwordx4 v[12:13], v[8:11], off
	v_mad_u64_u32 v[12:13], s[4:5], s8, v50, v[12:13]
	v_mul_f64 v[0:1], v[0:1], s[0:1]
	v_mul_f64 v[2:3], v[2:3], s[0:1]
	v_add_u32_e32 v13, s2, v13
	global_store_dwordx4 v[12:13], v[0:3], off
	ds_read_b128 v[0:3], v213 offset:22176
	s_waitcnt lgkmcnt(1)
	v_mul_f64 v[8:9], v[42:43], v[6:7]
	v_fmac_f64_e32 v[8:9], v[40:41], v[4:5]
	v_mul_f64 v[4:5], v[42:43], v[4:5]
	v_fma_f64 v[4:5], v[40:41], v[6:7], -v[4:5]
	v_mul_f64 v[10:11], v[4:5], s[0:1]
	s_waitcnt lgkmcnt(0)
	v_mul_f64 v[4:5], v[26:27], v[2:3]
	v_fmac_f64_e32 v[4:5], v[24:25], v[0:1]
	v_mul_f64 v[0:1], v[26:27], v[0:1]
	v_fma_f64 v[0:1], v[24:25], v[2:3], -v[0:1]
	v_mul_f64 v[6:7], v[0:1], s[0:1]
	ds_read_b128 v[0:3], v213 offset:24640
	v_mad_u64_u32 v[12:13], s[4:5], s8, v50, v[12:13]
	v_mul_f64 v[8:9], v[8:9], s[0:1]
	v_add_u32_e32 v13, s2, v13
	global_store_dwordx4 v[12:13], v[8:11], off
	v_mul_f64 v[4:5], v[4:5], s[0:1]
	v_mad_u64_u32 v[8:9], s[4:5], s8, v50, v[12:13]
	v_add_u32_e32 v9, s2, v9
	global_store_dwordx4 v[8:9], v[4:7], off
	s_waitcnt lgkmcnt(0)
	v_mul_f64 v[4:5], v[34:35], v[2:3]
	v_fmac_f64_e32 v[4:5], v[32:33], v[0:1]
	v_mul_f64 v[0:1], v[34:35], v[0:1]
	v_fma_f64 v[0:1], v[32:33], v[2:3], -v[0:1]
	v_mul_f64 v[4:5], v[4:5], s[0:1]
	v_mul_f64 v[6:7], v[0:1], s[0:1]
	v_mad_u64_u32 v[0:1], s[0:1], s8, v50, v[8:9]
	v_add_u32_e32 v1, s2, v1
	global_store_dwordx4 v[0:1], v[4:7], off
.LBB0_18:
	s_endpgm
	.section	.rodata,"a",@progbits
	.p2align	6, 0x0
	.amdhsa_kernel bluestein_single_fwd_len1694_dim1_dp_op_CI_CI
		.amdhsa_group_segment_fixed_size 27104
		.amdhsa_private_segment_fixed_size 0
		.amdhsa_kernarg_size 104
		.amdhsa_user_sgpr_count 6
		.amdhsa_user_sgpr_private_segment_buffer 1
		.amdhsa_user_sgpr_dispatch_ptr 0
		.amdhsa_user_sgpr_queue_ptr 0
		.amdhsa_user_sgpr_kernarg_segment_ptr 1
		.amdhsa_user_sgpr_dispatch_id 0
		.amdhsa_user_sgpr_flat_scratch_init 0
		.amdhsa_user_sgpr_kernarg_preload_length 0
		.amdhsa_user_sgpr_kernarg_preload_offset 0
		.amdhsa_user_sgpr_private_segment_size 0
		.amdhsa_uses_dynamic_stack 0
		.amdhsa_system_sgpr_private_segment_wavefront_offset 0
		.amdhsa_system_sgpr_workgroup_id_x 1
		.amdhsa_system_sgpr_workgroup_id_y 0
		.amdhsa_system_sgpr_workgroup_id_z 0
		.amdhsa_system_sgpr_workgroup_info 0
		.amdhsa_system_vgpr_workitem_id 0
		.amdhsa_next_free_vgpr 267
		.amdhsa_next_free_sgpr 42
		.amdhsa_accum_offset 256
		.amdhsa_reserve_vcc 1
		.amdhsa_reserve_flat_scratch 0
		.amdhsa_float_round_mode_32 0
		.amdhsa_float_round_mode_16_64 0
		.amdhsa_float_denorm_mode_32 3
		.amdhsa_float_denorm_mode_16_64 3
		.amdhsa_dx10_clamp 1
		.amdhsa_ieee_mode 1
		.amdhsa_fp16_overflow 0
		.amdhsa_tg_split 0
		.amdhsa_exception_fp_ieee_invalid_op 0
		.amdhsa_exception_fp_denorm_src 0
		.amdhsa_exception_fp_ieee_div_zero 0
		.amdhsa_exception_fp_ieee_overflow 0
		.amdhsa_exception_fp_ieee_underflow 0
		.amdhsa_exception_fp_ieee_inexact 0
		.amdhsa_exception_int_div_zero 0
	.end_amdhsa_kernel
	.text
.Lfunc_end0:
	.size	bluestein_single_fwd_len1694_dim1_dp_op_CI_CI, .Lfunc_end0-bluestein_single_fwd_len1694_dim1_dp_op_CI_CI
                                        ; -- End function
	.section	.AMDGPU.csdata,"",@progbits
; Kernel info:
; codeLenInByte = 20036
; NumSgprs: 46
; NumVgprs: 256
; NumAgprs: 11
; TotalNumVgprs: 267
; ScratchSize: 0
; MemoryBound: 0
; FloatMode: 240
; IeeeMode: 1
; LDSByteSize: 27104 bytes/workgroup (compile time only)
; SGPRBlocks: 5
; VGPRBlocks: 33
; NumSGPRsForWavesPerEU: 46
; NumVGPRsForWavesPerEU: 267
; AccumOffset: 256
; Occupancy: 1
; WaveLimiterHint : 1
; COMPUTE_PGM_RSRC2:SCRATCH_EN: 0
; COMPUTE_PGM_RSRC2:USER_SGPR: 6
; COMPUTE_PGM_RSRC2:TRAP_HANDLER: 0
; COMPUTE_PGM_RSRC2:TGID_X_EN: 1
; COMPUTE_PGM_RSRC2:TGID_Y_EN: 0
; COMPUTE_PGM_RSRC2:TGID_Z_EN: 0
; COMPUTE_PGM_RSRC2:TIDIG_COMP_CNT: 0
; COMPUTE_PGM_RSRC3_GFX90A:ACCUM_OFFSET: 63
; COMPUTE_PGM_RSRC3_GFX90A:TG_SPLIT: 0
	.text
	.p2alignl 6, 3212836864
	.fill 256, 4, 3212836864
	.type	__hip_cuid_163330a0bcd0aabe,@object ; @__hip_cuid_163330a0bcd0aabe
	.section	.bss,"aw",@nobits
	.globl	__hip_cuid_163330a0bcd0aabe
__hip_cuid_163330a0bcd0aabe:
	.byte	0                               ; 0x0
	.size	__hip_cuid_163330a0bcd0aabe, 1

	.ident	"AMD clang version 19.0.0git (https://github.com/RadeonOpenCompute/llvm-project roc-6.4.0 25133 c7fe45cf4b819c5991fe208aaa96edf142730f1d)"
	.section	".note.GNU-stack","",@progbits
	.addrsig
	.addrsig_sym __hip_cuid_163330a0bcd0aabe
	.amdgpu_metadata
---
amdhsa.kernels:
  - .agpr_count:     11
    .args:
      - .actual_access:  read_only
        .address_space:  global
        .offset:         0
        .size:           8
        .value_kind:     global_buffer
      - .actual_access:  read_only
        .address_space:  global
        .offset:         8
        .size:           8
        .value_kind:     global_buffer
      - .actual_access:  read_only
        .address_space:  global
        .offset:         16
        .size:           8
        .value_kind:     global_buffer
      - .actual_access:  read_only
        .address_space:  global
        .offset:         24
        .size:           8
        .value_kind:     global_buffer
      - .actual_access:  read_only
        .address_space:  global
        .offset:         32
        .size:           8
        .value_kind:     global_buffer
      - .offset:         40
        .size:           8
        .value_kind:     by_value
      - .address_space:  global
        .offset:         48
        .size:           8
        .value_kind:     global_buffer
      - .address_space:  global
        .offset:         56
        .size:           8
        .value_kind:     global_buffer
      - .address_space:  global
        .offset:         64
        .size:           8
        .value_kind:     global_buffer
      - .address_space:  global
        .offset:         72
        .size:           8
        .value_kind:     global_buffer
      - .offset:         80
        .size:           4
        .value_kind:     by_value
      - .address_space:  global
        .offset:         88
        .size:           8
        .value_kind:     global_buffer
      - .address_space:  global
        .offset:         96
        .size:           8
        .value_kind:     global_buffer
    .group_segment_fixed_size: 27104
    .kernarg_segment_align: 8
    .kernarg_segment_size: 104
    .language:       OpenCL C
    .language_version:
      - 2
      - 0
    .max_flat_workgroup_size: 154
    .name:           bluestein_single_fwd_len1694_dim1_dp_op_CI_CI
    .private_segment_fixed_size: 0
    .sgpr_count:     46
    .sgpr_spill_count: 0
    .symbol:         bluestein_single_fwd_len1694_dim1_dp_op_CI_CI.kd
    .uniform_work_group_size: 1
    .uses_dynamic_stack: false
    .vgpr_count:     267
    .vgpr_spill_count: 0
    .wavefront_size: 64
amdhsa.target:   amdgcn-amd-amdhsa--gfx90a
amdhsa.version:
  - 1
  - 2
...

	.end_amdgpu_metadata
